;; amdgpu-corpus repo=ROCm/composable_kernel kind=compiled arch=gfx950 opt=O3
	.amdgcn_target "amdgcn-amd-amdhsa--gfx950"
	.amdhsa_code_object_version 6
	.section	.text._ZN2ckL12flush_icacheEv,"axG",@progbits,_ZN2ckL12flush_icacheEv,comdat
	.globl	_ZN2ckL12flush_icacheEv         ; -- Begin function _ZN2ckL12flush_icacheEv
	.p2align	8
	.type	_ZN2ckL12flush_icacheEv,@function
_ZN2ckL12flush_icacheEv:                ; @_ZN2ckL12flush_icacheEv
; %bb.0:
	;;#ASMSTART
	s_icache_inv 
	s_nop 0 
	s_nop 0 
	;; [unrolled: 1-line block ×16, first 2 shown]
	
	;;#ASMEND
	s_endpgm
	.section	.rodata,"a",@progbits
	.p2align	6, 0x0
	.amdhsa_kernel _ZN2ckL12flush_icacheEv
		.amdhsa_group_segment_fixed_size 0
		.amdhsa_private_segment_fixed_size 0
		.amdhsa_kernarg_size 0
		.amdhsa_user_sgpr_count 0
		.amdhsa_user_sgpr_dispatch_ptr 0
		.amdhsa_user_sgpr_queue_ptr 0
		.amdhsa_user_sgpr_kernarg_segment_ptr 0
		.amdhsa_user_sgpr_dispatch_id 0
		.amdhsa_user_sgpr_kernarg_preload_length 0
		.amdhsa_user_sgpr_kernarg_preload_offset 0
		.amdhsa_user_sgpr_private_segment_size 0
		.amdhsa_uses_dynamic_stack 0
		.amdhsa_enable_private_segment 0
		.amdhsa_system_sgpr_workgroup_id_x 1
		.amdhsa_system_sgpr_workgroup_id_y 0
		.amdhsa_system_sgpr_workgroup_id_z 0
		.amdhsa_system_sgpr_workgroup_info 0
		.amdhsa_system_vgpr_workitem_id 0
		.amdhsa_next_free_vgpr 1
		.amdhsa_next_free_sgpr 0
		.amdhsa_accum_offset 4
		.amdhsa_reserve_vcc 0
		.amdhsa_float_round_mode_32 0
		.amdhsa_float_round_mode_16_64 0
		.amdhsa_float_denorm_mode_32 3
		.amdhsa_float_denorm_mode_16_64 3
		.amdhsa_dx10_clamp 1
		.amdhsa_ieee_mode 1
		.amdhsa_fp16_overflow 0
		.amdhsa_tg_split 0
		.amdhsa_exception_fp_ieee_invalid_op 0
		.amdhsa_exception_fp_denorm_src 0
		.amdhsa_exception_fp_ieee_div_zero 0
		.amdhsa_exception_fp_ieee_overflow 0
		.amdhsa_exception_fp_ieee_underflow 0
		.amdhsa_exception_fp_ieee_inexact 0
		.amdhsa_exception_int_div_zero 0
	.end_amdhsa_kernel
	.section	.text._ZN2ckL12flush_icacheEv,"axG",@progbits,_ZN2ckL12flush_icacheEv,comdat
.Lfunc_end0:
	.size	_ZN2ckL12flush_icacheEv, .Lfunc_end0-_ZN2ckL12flush_icacheEv
                                        ; -- End function
	.set _ZN2ckL12flush_icacheEv.num_vgpr, 0
	.set _ZN2ckL12flush_icacheEv.num_agpr, 0
	.set _ZN2ckL12flush_icacheEv.numbered_sgpr, 0
	.set _ZN2ckL12flush_icacheEv.num_named_barrier, 0
	.set _ZN2ckL12flush_icacheEv.private_seg_size, 0
	.set _ZN2ckL12flush_icacheEv.uses_vcc, 0
	.set _ZN2ckL12flush_icacheEv.uses_flat_scratch, 0
	.set _ZN2ckL12flush_icacheEv.has_dyn_sized_stack, 0
	.set _ZN2ckL12flush_icacheEv.has_recursion, 0
	.set _ZN2ckL12flush_icacheEv.has_indirect_call, 0
	.section	.AMDGPU.csdata,"",@progbits
; Kernel info:
; codeLenInByte = 276
; TotalNumSgprs: 6
; NumVgprs: 0
; NumAgprs: 0
; TotalNumVgprs: 0
; ScratchSize: 0
; MemoryBound: 0
; FloatMode: 240
; IeeeMode: 1
; LDSByteSize: 0 bytes/workgroup (compile time only)
; SGPRBlocks: 0
; VGPRBlocks: 0
; NumSGPRsForWavesPerEU: 6
; NumVGPRsForWavesPerEU: 1
; AccumOffset: 4
; Occupancy: 8
; WaveLimiterHint : 0
; COMPUTE_PGM_RSRC2:SCRATCH_EN: 0
; COMPUTE_PGM_RSRC2:USER_SGPR: 0
; COMPUTE_PGM_RSRC2:TRAP_HANDLER: 0
; COMPUTE_PGM_RSRC2:TGID_X_EN: 1
; COMPUTE_PGM_RSRC2:TGID_Y_EN: 0
; COMPUTE_PGM_RSRC2:TGID_Z_EN: 0
; COMPUTE_PGM_RSRC2:TIDIG_COMP_CNT: 0
; COMPUTE_PGM_RSRC3_GFX90A:ACCUM_OFFSET: 0
; COMPUTE_PGM_RSRC3_GFX90A:TG_SPLIT: 0
	.section	.text._ZN2ck51kernel_gemm_multiple_d_xdl_cshuffle_lds_direct_loadINS_48GridwiseGemmMultipleD_Xdl_CShuffle_LdsDirectLoadINS_13tensor_layout4gemm8RowMajorENS3_11ColumnMajorENS_5TupleIJS4_S4_EEES4_fffffNS6_IJffEEEfNS_16tensor_operation12element_wise11PassThroughESB_NSA_14AddAddFastGeluELNS_25InMemoryDataOperationEnumE0ELNS9_6device18GemmSpecializationE0ELi1ELi64ELi64ELi64ELi64ELi8ELi8ELi32ELi32ELi2ELi2ENS_8SequenceIJLi8ELi1ELi8EEEENSG_IJLi1ELi0ELi2EEEELi2ELi1ELi0ESH_SI_Li2ELi1ELi0ELi1ELi1ENSG_IJLi1ELi8ELi1ELi8EEEELi4ELNS_13LoopSchedulerE0ELNS_15PipelineVersionE2EfEEffNS6_IJPKfSO_EEEfSB_SB_SC_NS_16TensorDescriptorINS6_IJNS_5EmbedINS6_IJiiEEENS6_IJiNS_17integral_constantIiLi1EEEEEELb0EEENS_11PassThroughIiEESY_NS_7UnMergeINS6_IJiNST_IiLi8EEEEEELb0EEESY_EEENS6_IJNSG_IJLi0EEEENSG_IJLi1EEEENSG_IJLi2EEEENSG_IJLi4EEEENSG_IJLi3EEEEEEENS6_IJNSG_IJLi1ELi2EEEES18_S17_NSG_IJLi5ELi6EEEENSG_IJLi7EEEEEEENSG_IJLi5ELi7ELi6EEEElEES1F_NS6_IJNSQ_INS6_IJSW_SY_SY_NSZ_INS6_IJiNST_IiLi64EEEEEELb0EEES1I_EEENS6_IJS14_S15_S16_S18_S17_EEENS6_IJS1A_S18_S17_S1B_NSG_IJLi7ELi8EEEEEEENSG_IJLi5ELi6ELi7ELi8EEEElEES1O_EEES1O_NS_31BlockToCTileMap_M00_N0_M01AdaptILi64ELi64ENSQ_INS6_IJSW_SY_SY_EEENS6_IJS14_S15_S16_EEENS6_IJS1A_S18_S17_EEENSG_IJLi3ELi4EEEElEEiEELb1ELi2EEEvPKT0_PKT1_T2_PT3_T4_T5_T6_T7_T8_T9_T10_T11_,"axG",@progbits,_ZN2ck51kernel_gemm_multiple_d_xdl_cshuffle_lds_direct_loadINS_48GridwiseGemmMultipleD_Xdl_CShuffle_LdsDirectLoadINS_13tensor_layout4gemm8RowMajorENS3_11ColumnMajorENS_5TupleIJS4_S4_EEES4_fffffNS6_IJffEEEfNS_16tensor_operation12element_wise11PassThroughESB_NSA_14AddAddFastGeluELNS_25InMemoryDataOperationEnumE0ELNS9_6device18GemmSpecializationE0ELi1ELi64ELi64ELi64ELi64ELi8ELi8ELi32ELi32ELi2ELi2ENS_8SequenceIJLi8ELi1ELi8EEEENSG_IJLi1ELi0ELi2EEEELi2ELi1ELi0ESH_SI_Li2ELi1ELi0ELi1ELi1ENSG_IJLi1ELi8ELi1ELi8EEEELi4ELNS_13LoopSchedulerE0ELNS_15PipelineVersionE2EfEEffNS6_IJPKfSO_EEEfSB_SB_SC_NS_16TensorDescriptorINS6_IJNS_5EmbedINS6_IJiiEEENS6_IJiNS_17integral_constantIiLi1EEEEEELb0EEENS_11PassThroughIiEESY_NS_7UnMergeINS6_IJiNST_IiLi8EEEEEELb0EEESY_EEENS6_IJNSG_IJLi0EEEENSG_IJLi1EEEENSG_IJLi2EEEENSG_IJLi4EEEENSG_IJLi3EEEEEEENS6_IJNSG_IJLi1ELi2EEEES18_S17_NSG_IJLi5ELi6EEEENSG_IJLi7EEEEEEENSG_IJLi5ELi7ELi6EEEElEES1F_NS6_IJNSQ_INS6_IJSW_SY_SY_NSZ_INS6_IJiNST_IiLi64EEEEEELb0EEES1I_EEENS6_IJS14_S15_S16_S18_S17_EEENS6_IJS1A_S18_S17_S1B_NSG_IJLi7ELi8EEEEEEENSG_IJLi5ELi6ELi7ELi8EEEElEES1O_EEES1O_NS_31BlockToCTileMap_M00_N0_M01AdaptILi64ELi64ENSQ_INS6_IJSW_SY_SY_EEENS6_IJS14_S15_S16_EEENS6_IJS1A_S18_S17_EEENSG_IJLi3ELi4EEEElEEiEELb1ELi2EEEvPKT0_PKT1_T2_PT3_T4_T5_T6_T7_T8_T9_T10_T11_,comdat
	.protected	_ZN2ck51kernel_gemm_multiple_d_xdl_cshuffle_lds_direct_loadINS_48GridwiseGemmMultipleD_Xdl_CShuffle_LdsDirectLoadINS_13tensor_layout4gemm8RowMajorENS3_11ColumnMajorENS_5TupleIJS4_S4_EEES4_fffffNS6_IJffEEEfNS_16tensor_operation12element_wise11PassThroughESB_NSA_14AddAddFastGeluELNS_25InMemoryDataOperationEnumE0ELNS9_6device18GemmSpecializationE0ELi1ELi64ELi64ELi64ELi64ELi8ELi8ELi32ELi32ELi2ELi2ENS_8SequenceIJLi8ELi1ELi8EEEENSG_IJLi1ELi0ELi2EEEELi2ELi1ELi0ESH_SI_Li2ELi1ELi0ELi1ELi1ENSG_IJLi1ELi8ELi1ELi8EEEELi4ELNS_13LoopSchedulerE0ELNS_15PipelineVersionE2EfEEffNS6_IJPKfSO_EEEfSB_SB_SC_NS_16TensorDescriptorINS6_IJNS_5EmbedINS6_IJiiEEENS6_IJiNS_17integral_constantIiLi1EEEEEELb0EEENS_11PassThroughIiEESY_NS_7UnMergeINS6_IJiNST_IiLi8EEEEEELb0EEESY_EEENS6_IJNSG_IJLi0EEEENSG_IJLi1EEEENSG_IJLi2EEEENSG_IJLi4EEEENSG_IJLi3EEEEEEENS6_IJNSG_IJLi1ELi2EEEES18_S17_NSG_IJLi5ELi6EEEENSG_IJLi7EEEEEEENSG_IJLi5ELi7ELi6EEEElEES1F_NS6_IJNSQ_INS6_IJSW_SY_SY_NSZ_INS6_IJiNST_IiLi64EEEEEELb0EEES1I_EEENS6_IJS14_S15_S16_S18_S17_EEENS6_IJS1A_S18_S17_S1B_NSG_IJLi7ELi8EEEEEEENSG_IJLi5ELi6ELi7ELi8EEEElEES1O_EEES1O_NS_31BlockToCTileMap_M00_N0_M01AdaptILi64ELi64ENSQ_INS6_IJSW_SY_SY_EEENS6_IJS14_S15_S16_EEENS6_IJS1A_S18_S17_EEENSG_IJLi3ELi4EEEElEEiEELb1ELi2EEEvPKT0_PKT1_T2_PT3_T4_T5_T6_T7_T8_T9_T10_T11_ ; -- Begin function _ZN2ck51kernel_gemm_multiple_d_xdl_cshuffle_lds_direct_loadINS_48GridwiseGemmMultipleD_Xdl_CShuffle_LdsDirectLoadINS_13tensor_layout4gemm8RowMajorENS3_11ColumnMajorENS_5TupleIJS4_S4_EEES4_fffffNS6_IJffEEEfNS_16tensor_operation12element_wise11PassThroughESB_NSA_14AddAddFastGeluELNS_25InMemoryDataOperationEnumE0ELNS9_6device18GemmSpecializationE0ELi1ELi64ELi64ELi64ELi64ELi8ELi8ELi32ELi32ELi2ELi2ENS_8SequenceIJLi8ELi1ELi8EEEENSG_IJLi1ELi0ELi2EEEELi2ELi1ELi0ESH_SI_Li2ELi1ELi0ELi1ELi1ENSG_IJLi1ELi8ELi1ELi8EEEELi4ELNS_13LoopSchedulerE0ELNS_15PipelineVersionE2EfEEffNS6_IJPKfSO_EEEfSB_SB_SC_NS_16TensorDescriptorINS6_IJNS_5EmbedINS6_IJiiEEENS6_IJiNS_17integral_constantIiLi1EEEEEELb0EEENS_11PassThroughIiEESY_NS_7UnMergeINS6_IJiNST_IiLi8EEEEEELb0EEESY_EEENS6_IJNSG_IJLi0EEEENSG_IJLi1EEEENSG_IJLi2EEEENSG_IJLi4EEEENSG_IJLi3EEEEEEENS6_IJNSG_IJLi1ELi2EEEES18_S17_NSG_IJLi5ELi6EEEENSG_IJLi7EEEEEEENSG_IJLi5ELi7ELi6EEEElEES1F_NS6_IJNSQ_INS6_IJSW_SY_SY_NSZ_INS6_IJiNST_IiLi64EEEEEELb0EEES1I_EEENS6_IJS14_S15_S16_S18_S17_EEENS6_IJS1A_S18_S17_S1B_NSG_IJLi7ELi8EEEEEEENSG_IJLi5ELi6ELi7ELi8EEEElEES1O_EEES1O_NS_31BlockToCTileMap_M00_N0_M01AdaptILi64ELi64ENSQ_INS6_IJSW_SY_SY_EEENS6_IJS14_S15_S16_EEENS6_IJS1A_S18_S17_EEENSG_IJLi3ELi4EEEElEEiEELb1ELi2EEEvPKT0_PKT1_T2_PT3_T4_T5_T6_T7_T8_T9_T10_T11_
	.globl	_ZN2ck51kernel_gemm_multiple_d_xdl_cshuffle_lds_direct_loadINS_48GridwiseGemmMultipleD_Xdl_CShuffle_LdsDirectLoadINS_13tensor_layout4gemm8RowMajorENS3_11ColumnMajorENS_5TupleIJS4_S4_EEES4_fffffNS6_IJffEEEfNS_16tensor_operation12element_wise11PassThroughESB_NSA_14AddAddFastGeluELNS_25InMemoryDataOperationEnumE0ELNS9_6device18GemmSpecializationE0ELi1ELi64ELi64ELi64ELi64ELi8ELi8ELi32ELi32ELi2ELi2ENS_8SequenceIJLi8ELi1ELi8EEEENSG_IJLi1ELi0ELi2EEEELi2ELi1ELi0ESH_SI_Li2ELi1ELi0ELi1ELi1ENSG_IJLi1ELi8ELi1ELi8EEEELi4ELNS_13LoopSchedulerE0ELNS_15PipelineVersionE2EfEEffNS6_IJPKfSO_EEEfSB_SB_SC_NS_16TensorDescriptorINS6_IJNS_5EmbedINS6_IJiiEEENS6_IJiNS_17integral_constantIiLi1EEEEEELb0EEENS_11PassThroughIiEESY_NS_7UnMergeINS6_IJiNST_IiLi8EEEEEELb0EEESY_EEENS6_IJNSG_IJLi0EEEENSG_IJLi1EEEENSG_IJLi2EEEENSG_IJLi4EEEENSG_IJLi3EEEEEEENS6_IJNSG_IJLi1ELi2EEEES18_S17_NSG_IJLi5ELi6EEEENSG_IJLi7EEEEEEENSG_IJLi5ELi7ELi6EEEElEES1F_NS6_IJNSQ_INS6_IJSW_SY_SY_NSZ_INS6_IJiNST_IiLi64EEEEEELb0EEES1I_EEENS6_IJS14_S15_S16_S18_S17_EEENS6_IJS1A_S18_S17_S1B_NSG_IJLi7ELi8EEEEEEENSG_IJLi5ELi6ELi7ELi8EEEElEES1O_EEES1O_NS_31BlockToCTileMap_M00_N0_M01AdaptILi64ELi64ENSQ_INS6_IJSW_SY_SY_EEENS6_IJS14_S15_S16_EEENS6_IJS1A_S18_S17_EEENSG_IJLi3ELi4EEEElEEiEELb1ELi2EEEvPKT0_PKT1_T2_PT3_T4_T5_T6_T7_T8_T9_T10_T11_
	.p2align	8
	.type	_ZN2ck51kernel_gemm_multiple_d_xdl_cshuffle_lds_direct_loadINS_48GridwiseGemmMultipleD_Xdl_CShuffle_LdsDirectLoadINS_13tensor_layout4gemm8RowMajorENS3_11ColumnMajorENS_5TupleIJS4_S4_EEES4_fffffNS6_IJffEEEfNS_16tensor_operation12element_wise11PassThroughESB_NSA_14AddAddFastGeluELNS_25InMemoryDataOperationEnumE0ELNS9_6device18GemmSpecializationE0ELi1ELi64ELi64ELi64ELi64ELi8ELi8ELi32ELi32ELi2ELi2ENS_8SequenceIJLi8ELi1ELi8EEEENSG_IJLi1ELi0ELi2EEEELi2ELi1ELi0ESH_SI_Li2ELi1ELi0ELi1ELi1ENSG_IJLi1ELi8ELi1ELi8EEEELi4ELNS_13LoopSchedulerE0ELNS_15PipelineVersionE2EfEEffNS6_IJPKfSO_EEEfSB_SB_SC_NS_16TensorDescriptorINS6_IJNS_5EmbedINS6_IJiiEEENS6_IJiNS_17integral_constantIiLi1EEEEEELb0EEENS_11PassThroughIiEESY_NS_7UnMergeINS6_IJiNST_IiLi8EEEEEELb0EEESY_EEENS6_IJNSG_IJLi0EEEENSG_IJLi1EEEENSG_IJLi2EEEENSG_IJLi4EEEENSG_IJLi3EEEEEEENS6_IJNSG_IJLi1ELi2EEEES18_S17_NSG_IJLi5ELi6EEEENSG_IJLi7EEEEEEENSG_IJLi5ELi7ELi6EEEElEES1F_NS6_IJNSQ_INS6_IJSW_SY_SY_NSZ_INS6_IJiNST_IiLi64EEEEEELb0EEES1I_EEENS6_IJS14_S15_S16_S18_S17_EEENS6_IJS1A_S18_S17_S1B_NSG_IJLi7ELi8EEEEEEENSG_IJLi5ELi6ELi7ELi8EEEElEES1O_EEES1O_NS_31BlockToCTileMap_M00_N0_M01AdaptILi64ELi64ENSQ_INS6_IJSW_SY_SY_EEENS6_IJS14_S15_S16_EEENS6_IJS1A_S18_S17_EEENSG_IJLi3ELi4EEEElEEiEELb1ELi2EEEvPKT0_PKT1_T2_PT3_T4_T5_T6_T7_T8_T9_T10_T11_,@function
_ZN2ck51kernel_gemm_multiple_d_xdl_cshuffle_lds_direct_loadINS_48GridwiseGemmMultipleD_Xdl_CShuffle_LdsDirectLoadINS_13tensor_layout4gemm8RowMajorENS3_11ColumnMajorENS_5TupleIJS4_S4_EEES4_fffffNS6_IJffEEEfNS_16tensor_operation12element_wise11PassThroughESB_NSA_14AddAddFastGeluELNS_25InMemoryDataOperationEnumE0ELNS9_6device18GemmSpecializationE0ELi1ELi64ELi64ELi64ELi64ELi8ELi8ELi32ELi32ELi2ELi2ENS_8SequenceIJLi8ELi1ELi8EEEENSG_IJLi1ELi0ELi2EEEELi2ELi1ELi0ESH_SI_Li2ELi1ELi0ELi1ELi1ENSG_IJLi1ELi8ELi1ELi8EEEELi4ELNS_13LoopSchedulerE0ELNS_15PipelineVersionE2EfEEffNS6_IJPKfSO_EEEfSB_SB_SC_NS_16TensorDescriptorINS6_IJNS_5EmbedINS6_IJiiEEENS6_IJiNS_17integral_constantIiLi1EEEEEELb0EEENS_11PassThroughIiEESY_NS_7UnMergeINS6_IJiNST_IiLi8EEEEEELb0EEESY_EEENS6_IJNSG_IJLi0EEEENSG_IJLi1EEEENSG_IJLi2EEEENSG_IJLi4EEEENSG_IJLi3EEEEEEENS6_IJNSG_IJLi1ELi2EEEES18_S17_NSG_IJLi5ELi6EEEENSG_IJLi7EEEEEEENSG_IJLi5ELi7ELi6EEEElEES1F_NS6_IJNSQ_INS6_IJSW_SY_SY_NSZ_INS6_IJiNST_IiLi64EEEEEELb0EEES1I_EEENS6_IJS14_S15_S16_S18_S17_EEENS6_IJS1A_S18_S17_S1B_NSG_IJLi7ELi8EEEEEEENSG_IJLi5ELi6ELi7ELi8EEEElEES1O_EEES1O_NS_31BlockToCTileMap_M00_N0_M01AdaptILi64ELi64ENSQ_INS6_IJSW_SY_SY_EEENS6_IJS14_S15_S16_EEENS6_IJS1A_S18_S17_EEENSG_IJLi3ELi4EEEElEEiEELb1ELi2EEEvPKT0_PKT1_T2_PT3_T4_T5_T6_T7_T8_T9_T10_T11_: ; @_ZN2ck51kernel_gemm_multiple_d_xdl_cshuffle_lds_direct_loadINS_48GridwiseGemmMultipleD_Xdl_CShuffle_LdsDirectLoadINS_13tensor_layout4gemm8RowMajorENS3_11ColumnMajorENS_5TupleIJS4_S4_EEES4_fffffNS6_IJffEEEfNS_16tensor_operation12element_wise11PassThroughESB_NSA_14AddAddFastGeluELNS_25InMemoryDataOperationEnumE0ELNS9_6device18GemmSpecializationE0ELi1ELi64ELi64ELi64ELi64ELi8ELi8ELi32ELi32ELi2ELi2ENS_8SequenceIJLi8ELi1ELi8EEEENSG_IJLi1ELi0ELi2EEEELi2ELi1ELi0ESH_SI_Li2ELi1ELi0ELi1ELi1ENSG_IJLi1ELi8ELi1ELi8EEEELi4ELNS_13LoopSchedulerE0ELNS_15PipelineVersionE2EfEEffNS6_IJPKfSO_EEEfSB_SB_SC_NS_16TensorDescriptorINS6_IJNS_5EmbedINS6_IJiiEEENS6_IJiNS_17integral_constantIiLi1EEEEEELb0EEENS_11PassThroughIiEESY_NS_7UnMergeINS6_IJiNST_IiLi8EEEEEELb0EEESY_EEENS6_IJNSG_IJLi0EEEENSG_IJLi1EEEENSG_IJLi2EEEENSG_IJLi4EEEENSG_IJLi3EEEEEEENS6_IJNSG_IJLi1ELi2EEEES18_S17_NSG_IJLi5ELi6EEEENSG_IJLi7EEEEEEENSG_IJLi5ELi7ELi6EEEElEES1F_NS6_IJNSQ_INS6_IJSW_SY_SY_NSZ_INS6_IJiNST_IiLi64EEEEEELb0EEES1I_EEENS6_IJS14_S15_S16_S18_S17_EEENS6_IJS1A_S18_S17_S1B_NSG_IJLi7ELi8EEEEEEENSG_IJLi5ELi6ELi7ELi8EEEElEES1O_EEES1O_NS_31BlockToCTileMap_M00_N0_M01AdaptILi64ELi64ENSQ_INS6_IJSW_SY_SY_EEENS6_IJS14_S15_S16_EEENS6_IJS1A_S18_S17_EEENSG_IJLi3ELi4EEEElEEiEELb1ELi2EEEvPKT0_PKT1_T2_PT3_T4_T5_T6_T7_T8_T9_T10_T11_
; %bb.0:
	s_mov_b64 s[62:63], s[0:1]
	s_load_dwordx4 s[4:7], s[0:1], 0x158
	s_nop 0
	s_load_dword s0, s[0:1], 0x168
                                        ; implicit-def: $vgpr248 : SGPR spill to VGPR lane
	s_mov_b32 s23, 0x20000
	s_load_dwordx8 s[36:43], s[62:63], 0x0
	s_mov_b32 m0, 0
	s_waitcnt lgkmcnt(0)
	s_add_i32 s1, s7, 63
	v_writelane_b32 v248, s4, 0
	s_add_i32 s3, s6, 63
	s_mov_b32 s20, s36
	v_writelane_b32 v248, s5, 1
	v_writelane_b32 v248, s6, 2
	;; [unrolled: 1-line block ×3, first 2 shown]
	s_ashr_i32 s4, s3, 31
	s_ashr_i32 s5, s1, 31
	s_lshr_b32 s4, s4, 26
	s_lshr_b32 s5, s5, 26
	s_add_i32 s3, s3, s4
	s_add_i32 s1, s1, s5
	s_ashr_i32 s4, s3, 6
	s_ashr_i32 s1, s1, 6
	s_mul_i32 s5, s1, s4
	s_abs_i32 s5, s5
	v_cvt_f32_u32_e32 v1, s5
	s_sub_i32 s7, 0, s5
	s_ashr_i32 s6, s2, 31
	s_abs_i32 s2, s2
	v_rcp_iflag_f32_e32 v1, v1
	s_mov_b32 s21, s37
	s_mov_b32 s24, s38
	;; [unrolled: 1-line block ×3, first 2 shown]
	v_mul_f32_e32 v1, 0x4f7ffffe, v1
	v_cvt_u32_f32_e32 v1, v1
	v_lshlrev_b32_e32 v194, 2, v0
	v_and_b32_e32 v67, 0xe0, v194
	s_load_dword s59, s[62:63], 0xe8
	v_readfirstlane_b32 s8, v1
	s_mul_i32 s7, s7, s8
	s_mul_hi_u32 s7, s8, s7
	s_add_i32 s8, s8, s7
	s_mul_hi_u32 s7, s2, s8
	s_mul_i32 s7, s7, s5
	s_sub_i32 s2, s2, s7
	s_sub_i32 s7, s2, s5
	s_cmp_ge_u32 s2, s5
	s_cselect_b32 s2, s7, s2
	s_sub_i32 s7, s2, s5
	s_cmp_ge_u32 s2, s5
	s_cselect_b32 s2, s7, s2
	s_abs_i32 s5, s1
	v_cvt_f32_u32_e32 v1, s5
	s_sub_i32 s7, 0, s5
	s_xor_b32 s2, s2, s6
	s_sub_i32 s2, s2, s6
	v_rcp_iflag_f32_e32 v1, v1
	s_abs_i32 s8, s2
	s_xor_b32 s6, s2, s1
	s_ashr_i32 s6, s6, 31
	v_mul_f32_e32 v1, 0x4f7ffffe, v1
	v_cvt_u32_f32_e32 v1, v1
	v_and_b32_e32 v3, 32, v0
	v_and_b32_e32 v2, 7, v0
	v_lshlrev_b32_e32 v3, 2, v3
	v_readfirstlane_b32 s9, v1
	s_mul_i32 s7, s7, s9
	s_mul_hi_u32 s7, s9, s7
	s_add_i32 s9, s9, s7
	s_mul_hi_u32 s7, s8, s9
	s_mul_i32 s9, s7, s5
	s_sub_i32 s8, s8, s9
	s_add_i32 s10, s7, 1
	s_sub_i32 s9, s8, s5
	s_cmp_ge_u32 s8, s5
	s_cselect_b32 s7, s10, s7
	s_cselect_b32 s8, s9, s8
	s_add_i32 s9, s7, 1
	s_cmp_ge_u32 s8, s5
	s_cselect_b32 s5, s9, s7
	s_abs_i32 s7, s0
	v_cvt_f32_u32_e32 v1, s7
	s_sub_i32 s9, 0, s7
	s_abs_i32 s8, s4
	s_xor_b32 s5, s5, s6
	v_rcp_iflag_f32_e32 v1, v1
	s_ashr_i32 s3, s3, 31
	s_sub_i32 s5, s5, s6
	s_mul_i32 s6, s5, s1
	v_mul_f32_e32 v1, 0x4f7ffffe, v1
	v_cvt_u32_f32_e32 v1, v1
	s_nop 0
	v_readfirstlane_b32 s10, v1
	s_mul_i32 s9, s9, s10
	s_mul_hi_u32 s9, s10, s9
	s_add_i32 s10, s10, s9
	s_mul_hi_u32 s9, s8, s10
	s_mul_i32 s9, s9, s7
	s_sub_i32 s8, s8, s9
	s_sub_i32 s9, s8, s7
	s_cmp_ge_u32 s8, s7
	s_cselect_b32 s8, s9, s8
	s_sub_i32 s9, s8, s7
	s_cmp_ge_u32 s8, s7
	s_cselect_b32 s8, s9, s8
	s_xor_b32 s8, s8, s3
	s_sub_i32 s3, s8, s3
	s_sub_i32 s4, s4, s3
	s_cmp_lt_i32 s5, s4
	s_cselect_b32 s3, s0, s3
	s_abs_i32 s0, s5
	s_sub_i32 s4, s2, s6
	s_mul_hi_u32 s2, s0, s10
	s_mul_i32 s2, s2, s7
	s_sub_i32 s0, s0, s2
	s_ashr_i32 s8, s5, 31
	s_sub_i32 s2, s0, s7
	s_cmp_ge_u32 s0, s7
	s_cselect_b32 s0, s2, s0
	s_sub_i32 s2, s0, s7
	s_cmp_ge_u32 s0, s7
	s_cselect_b32 s7, s2, s0
	s_abs_i32 s9, s3
	v_cvt_f32_u32_e32 v1, s9
	s_load_dword s0, s[62:63], 0x38
	s_load_dword s10, s[62:63], 0x48
	s_load_dword s11, s[62:63], 0x60
	s_load_dword s2, s[62:63], 0x70
	s_load_dword s6, s[62:63], 0x98
	s_load_dword s12, s[62:63], 0xa8
	s_xor_b32 s7, s7, s8
	s_sub_i32 s7, s7, s8
	v_rcp_iflag_f32_e32 v1, v1
	s_mul_i32 s1, s7, s1
	s_waitcnt lgkmcnt(0)
	v_writelane_b32 v248, s12, 4
	s_sub_i32 s12, 0, s9
	v_mul_f32_e32 v1, 0x4f7ffffe, v1
	v_cvt_u32_f32_e32 v1, v1
	s_add_i32 s1, s1, s4
	s_abs_i32 s8, s1
	s_xor_b32 s4, s1, s3
	v_readfirstlane_b32 s13, v1
	s_mul_i32 s12, s12, s13
	s_mul_hi_u32 s12, s13, s12
	s_add_i32 s13, s13, s12
	s_mul_hi_u32 s12, s8, s13
	s_mul_i32 s13, s12, s9
	s_sub_i32 s8, s8, s13
	s_ashr_i32 s4, s4, 31
	s_add_i32 s13, s12, 1
	s_sub_i32 s14, s8, s9
	s_cmp_ge_u32 s8, s9
	s_cselect_b32 s12, s13, s12
	s_cselect_b32 s8, s14, s8
	s_add_i32 s13, s12, 1
	s_cmp_ge_u32 s8, s9
	s_cselect_b32 s8, s13, s12
	s_xor_b32 s8, s8, s4
	s_sub_i32 s4, s8, s4
	s_mul_i32 s3, s4, s3
	s_sub_i32 s1, s1, s3
	s_sub_i32 s3, s5, s7
	s_add_i32 s1, s3, s1
	v_writelane_b32 v248, s1, 5
	s_lshl_b32 s1, s1, 6
	s_mul_i32 s3, s1, s0
	v_or_b32_e32 v4, s3, v0
	s_ashr_i32 s7, s10, 31
	s_lshr_b32 s7, s7, 29
	s_lshl_b32 s22, s11, 2
	v_lshlrev_b32_e32 v6, 2, v4
	v_add_u32_e32 v4, s0, v4
	s_add_i32 s60, 0, 0x100
	v_writelane_b32 v248, s4, 6
	s_add_i32 s10, s10, s7
	buffer_load_dword v6, s[20:23], 0 offen lds
	v_lshlrev_b32_e32 v6, 2, v4
	s_mov_b32 m0, s60
	v_add_u32_e32 v4, s0, v4
	s_add_i32 s7, 0, 0x200
	buffer_load_dword v6, s[20:23], 0 offen lds
	v_lshlrev_b32_e32 v6, 2, v4
	v_writelane_b32 v248, s7, 7
	s_mov_b32 m0, s7
	v_add_u32_e32 v4, s0, v4
	s_add_i32 s7, 0, 0x300
	buffer_load_dword v6, s[20:23], 0 offen lds
	v_lshlrev_b32_e32 v6, 2, v4
	v_writelane_b32 v248, s7, 8
	;; [unrolled: 6-line block ×13, first 2 shown]
	s_mov_b32 m0, s7
	v_add_u32_e32 v4, s0, v4
	s_add_i32 s7, 0, 0xf00
	buffer_load_dword v6, s[20:23], 0 offen lds
	v_lshlrev_b32_e32 v6, 2, v4
	s_mov_b32 m0, s7
	v_add_u32_e32 v4, s0, v4
	v_writelane_b32 v248, s7, 20
	buffer_load_dword v6, s[20:23], 0 offen lds
	v_lshlrev_b32_e32 v6, 2, v4
	s_movk_i32 m0, 0x1000
	v_add_u32_e32 v4, s0, v4
	s_add_i32 s7, 0, 0x1100
	buffer_load_dword v6, s[20:23], 0 offen lds
	v_lshlrev_b32_e32 v6, 2, v4
	v_writelane_b32 v248, s7, 21
	s_mov_b32 m0, s7
	v_add_u32_e32 v4, s0, v4
	s_add_i32 s7, 0, 0x1200
	buffer_load_dword v6, s[20:23], 0 offen lds
	v_lshlrev_b32_e32 v6, 2, v4
	v_writelane_b32 v248, s7, 22
	s_mov_b32 m0, s7
	;; [unrolled: 6-line block ×14, first 2 shown]
	v_add_u32_e32 v4, s0, v4
	s_add_i32 s7, 0, 0x1f00
	buffer_load_dword v6, s[20:23], 0 offen lds
	v_lshlrev_b32_e32 v6, 2, v4
	s_mov_b32 m0, s7
	v_add_u32_e32 v4, s0, v4
	v_writelane_b32 v248, s7, 35
	buffer_load_dword v6, s[20:23], 0 offen lds
	v_lshlrev_b32_e32 v6, 2, v4
	s_movk_i32 m0, 0x2000
	v_add_u32_e32 v4, s0, v4
	s_add_i32 s7, 0, 0x2100
	buffer_load_dword v6, s[20:23], 0 offen lds
	v_lshlrev_b32_e32 v6, 2, v4
	v_writelane_b32 v248, s7, 36
	s_mov_b32 m0, s7
	v_add_u32_e32 v4, s0, v4
	s_add_i32 s7, 0, 0x2200
	buffer_load_dword v6, s[20:23], 0 offen lds
	v_lshlrev_b32_e32 v6, 2, v4
	v_writelane_b32 v248, s7, 37
	s_mov_b32 m0, s7
	v_add_u32_e32 v4, s0, v4
	s_add_i32 s7, 0, 0x2300
	buffer_load_dword v6, s[20:23], 0 offen lds
	v_lshlrev_b32_e32 v6, 2, v4
	v_writelane_b32 v248, s7, 38
	s_mov_b32 m0, s7
	v_add_u32_e32 v4, s0, v4
	s_add_i32 s7, 0, 0x2400
	buffer_load_dword v6, s[20:23], 0 offen lds
	v_lshlrev_b32_e32 v6, 2, v4
	v_writelane_b32 v248, s7, 39
	s_mov_b32 m0, s7
	v_add_u32_e32 v4, s0, v4
	s_add_i32 s7, 0, 0x2500
	buffer_load_dword v6, s[20:23], 0 offen lds
	v_lshlrev_b32_e32 v6, 2, v4
	v_writelane_b32 v248, s7, 40
	s_mov_b32 m0, s7
	v_add_u32_e32 v4, s0, v4
	s_add_i32 s7, 0, 0x2600
	buffer_load_dword v6, s[20:23], 0 offen lds
	v_lshlrev_b32_e32 v6, 2, v4
	v_writelane_b32 v248, s7, 41
	s_mov_b32 m0, s7
	v_add_u32_e32 v4, s0, v4
	s_add_i32 s7, 0, 0x2700
	buffer_load_dword v6, s[20:23], 0 offen lds
	v_lshlrev_b32_e32 v6, 2, v4
	s_mov_b32 m0, s7
	v_add_u32_e32 v4, s0, v4
	s_add_i32 s64, 0, 0x2800
	buffer_load_dword v6, s[20:23], 0 offen lds
	v_lshlrev_b32_e32 v6, 2, v4
	s_mov_b32 m0, s64
	;; [unrolled: 5-line block ×9, first 2 shown]
	v_add_u32_e32 v4, s0, v4
	buffer_load_dword v6, s[20:23], 0 offen lds
	v_lshlrev_b32_e32 v6, 2, v4
	s_movk_i32 m0, 0x3000
	v_add_u32_e32 v4, s0, v4
	s_add_i32 s72, 0, 0x3100
	buffer_load_dword v6, s[20:23], 0 offen lds
	v_lshlrev_b32_e32 v6, 2, v4
	s_mov_b32 m0, s72
	v_add_u32_e32 v4, s0, v4
	s_add_i32 s73, 0, 0x3200
	buffer_load_dword v6, s[20:23], 0 offen lds
	v_lshlrev_b32_e32 v6, 2, v4
	s_mov_b32 m0, s73
	;; [unrolled: 5-line block ×12, first 2 shown]
	v_add_u32_e32 v4, s0, v4
	s_add_i32 s84, 0, 0x3d00
	s_lshl_b32 s4, s4, 6
	buffer_load_dword v6, s[20:23], 0 offen lds
	v_lshlrev_b32_e32 v6, 2, v4
	s_mov_b32 m0, s84
	v_add_u32_e32 v4, s0, v4
	s_add_i32 s85, 0, 0x3e00
	s_mul_i32 s5, s4, s2
	buffer_load_dword v6, s[20:23], 0 offen lds
	v_lshlrev_b32_e32 v6, 2, v4
	s_mov_b32 m0, s85
	s_add_i32 s86, 0, 0x3f00
	v_or_b32_e32 v5, s5, v0
	v_writelane_b32 v248, s7, 42
	buffer_load_dword v6, s[20:23], 0 offen lds
	v_add_lshl_u32 v4, v4, s0, 2
	s_mov_b32 m0, s86
	s_add_i32 s87, 0, 0x4000
	buffer_load_dword v4, s[20:23], 0 offen lds
	s_lshl_b32 s26, s6, 2
	v_writelane_b32 v248, s36, 43
	s_mov_b32 s25, s39
	v_lshlrev_b32_e32 v4, 2, v5
	s_mov_b32 m0, s87
	s_add_i32 s88, 0, 0x4100
	buffer_load_dword v4, s[24:27], 0 offen lds
	v_add_u32_e32 v4, s2, v5
	v_lshlrev_b32_e32 v5, 2, v4
	s_mov_b32 m0, s88
	v_add_u32_e32 v4, s2, v4
	buffer_load_dword v5, s[24:27], 0 offen lds
	v_lshlrev_b32_e32 v5, 2, v4
	s_add_i32 s89, 0, 0x4200
	v_add_u32_e32 v68, s2, v4
	v_lshl_or_b32 v4, s5, 2, v67
	s_or_b32 s5, s4, 63
	s_mov_b32 m0, s89
	s_mul_i32 s5, s2, s5
	buffer_load_dword v5, s[24:27], 0 offen lds
	v_lshl_add_u32 v5, s5, 2, v67
	s_or_b32 s5, s4, 62
	s_mul_i32 s5, s2, s5
	v_lshl_add_u32 v6, s5, 2, v67
	s_or_b32 s5, s4, 61
	s_mul_i32 s5, s2, s5
	;; [unrolled: 3-line block ×31, first 2 shown]
	s_add_i32 s90, 0, 0x4300
	v_lshlrev_b32_e32 v69, 2, v68
	v_lshl_add_u32 v36, s5, 2, v67
	s_or_b32 s5, s4, 31
	s_mov_b32 m0, s90
	v_add_u32_e32 v68, s2, v68
	s_mul_i32 s5, s2, s5
	buffer_load_dword v69, s[24:27], 0 offen lds
	v_lshlrev_b32_e32 v69, 2, v68
	v_add_u32_e32 v68, s2, v68
	v_lshl_add_u32 v37, s5, 2, v67
	s_or_b32 s5, s4, 30
	v_add_u32_e32 v70, s2, v68
	s_mul_i32 s5, s2, s5
	v_add_u32_e32 v95, s2, v70
	v_lshl_add_u32 v38, s5, 2, v67
	s_or_b32 s5, s4, 29
	v_add_u32_e32 v96, s2, v95
	s_mul_i32 s5, s2, s5
	;; [unrolled: 5-line block ×28, first 2 shown]
	v_add_u32_e32 v84, s2, v85
	v_lshl_add_u32 v65, s5, 2, v67
	s_or_b32 s5, s4, 2
	v_add_u32_e32 v83, s2, v84
	s_or_b32 s4, s4, 1
	s_add_i32 s91, 0, 0x4400
	s_mul_i32 s5, s2, s5
	v_add_lshl_u32 v82, v83, s2, 2
	s_mul_i32 s2, s2, s4
	s_mov_b32 m0, s91
	v_lshlrev_b32_e32 v139, 2, v70
	buffer_load_dword v69, s[24:27], 0 offen lds
	v_lshlrev_b32_e32 v69, 2, v68
	v_lshl_add_u32 v68, s2, 2, v67
	s_or_b32 s2, s1, 63
	s_mul_i32 s2, s0, s2
	v_lshl_add_u32 v70, s2, 2, v67
	s_or_b32 s2, s1, 62
	s_mul_i32 s2, s0, s2
	;; [unrolled: 3-line block ×56, first 2 shown]
	v_lshl_add_u32 v205, s2, 2, v67
	s_or_b32 s2, s1, 7
	s_add_i32 s92, 0, 0x4500
	s_mul_i32 s2, s0, s2
	s_mov_b32 m0, s92
	v_lshl_add_u32 v206, s2, 2, v67
	s_or_b32 s2, s1, 6
	s_add_i32 s93, 0, 0x4600
	buffer_load_dword v69, s[24:27], 0 offen lds
	s_mul_i32 s2, s0, s2
	s_mov_b32 m0, s93
	s_add_i32 s94, 0, 0x4700
	v_lshl_add_u32 v207, s2, 2, v67
	s_or_b32 s2, s1, 5
	buffer_load_dword v139, s[24:27], 0 offen lds
	v_lshlrev_b32_e32 v95, 2, v95
	s_mov_b32 m0, s94
	s_add_i32 s95, 0, 0x4800
	s_mul_i32 s2, s0, s2
	buffer_load_dword v95, s[24:27], 0 offen lds
	v_lshlrev_b32_e32 v95, 2, v96
	s_mov_b32 m0, s95
	s_add_i32 s96, 0, 0x4900
	v_lshl_add_u32 v208, s2, 2, v67
	s_or_b32 s2, s1, 4
	buffer_load_dword v95, s[24:27], 0 offen lds
	v_lshlrev_b32_e32 v95, 2, v97
	s_mov_b32 m0, s96
	s_add_i32 s97, 0, 0x4a00
	s_mul_i32 s2, s0, s2
	buffer_load_dword v95, s[24:27], 0 offen lds
	v_lshlrev_b32_e32 v95, 2, v98
	;; [unrolled: 11-line block ×3, first 2 shown]
	s_mov_b32 m0, s99
	s_add_i32 vcc_lo, 0, 0x4d00
	v_lshl_add_u32 v210, s2, 2, v67
	s_or_b32 s2, s1, 2
	buffer_load_dword v95, s[24:27], 0 offen lds
	v_lshlrev_b32_e32 v95, 2, v101
	s_mov_b32 m0, vcc_lo
	s_add_i32 vcc_hi, 0, 0x4e00
	s_mul_i32 s2, s0, s2
	buffer_load_dword v95, s[24:27], 0 offen lds
	v_lshlrev_b32_e32 v95, 2, v102
	s_mov_b32 m0, vcc_hi
	s_add_i32 s15, 0, 0x4f00
	v_lshl_add_u32 v211, s2, 2, v67
	buffer_load_dword v95, s[24:27], 0 offen lds
	v_lshlrev_b32_e32 v95, 2, v103
	s_mov_b32 m0, s15
	s_add_i32 s2, 0, 0x5000
	v_lshl_or_b32 v69, s3, 2, v67
	buffer_load_dword v95, s[24:27], 0 offen lds
	v_lshlrev_b32_e32 v95, 2, v104
	s_mov_b32 m0, s2
	s_add_i32 s3, 0, 0x5100
	buffer_load_dword v95, s[24:27], 0 offen lds
	v_lshlrev_b32_e32 v95, 2, v105
	s_mov_b32 m0, s3
	s_add_i32 s16, 0, 0x5200
	;; [unrolled: 4-line block ×3, first 2 shown]
	v_lshl_add_u32 v66, s5, 2, v67
	buffer_load_dword v95, s[24:27], 0 offen lds
	v_lshlrev_b32_e32 v95, 2, v107
	s_mov_b32 m0, s4
	s_add_i32 s5, 0, 0x5400
	buffer_load_dword v95, s[24:27], 0 offen lds
	v_lshlrev_b32_e32 v95, 2, v108
	s_mov_b32 m0, s5
	s_add_i32 s14, 0, 0x5500
	buffer_load_dword v95, s[24:27], 0 offen lds
	v_lshlrev_b32_e32 v95, 2, v109
	s_mov_b32 m0, s14
	s_add_i32 s17, 0, 0x5600
	buffer_load_dword v95, s[24:27], 0 offen lds
	v_lshlrev_b32_e32 v95, 2, v110
	s_mov_b32 m0, s17
	s_add_i32 s8, 0, 0x5700
	buffer_load_dword v95, s[24:27], 0 offen lds
	v_lshlrev_b32_e32 v95, 2, v111
	s_mov_b32 m0, s8
	s_add_i32 s9, 0, 0x5800
	s_ashr_i32 s58, s10, 3
	buffer_load_dword v95, s[24:27], 0 offen lds
	v_lshlrev_b32_e32 v95, 2, v112
	s_mov_b32 m0, s9
	s_add_i32 s10, 0, 0x5900
	buffer_load_dword v95, s[24:27], 0 offen lds
	v_lshlrev_b32_e32 v95, 2, v113
	s_mov_b32 m0, s10
	s_add_i32 s11, 0, 0x5a00
	;; [unrolled: 4-line block ×6, first 2 shown]
	s_or_b32 s1, s1, 1
	buffer_load_dword v95, s[24:27], 0 offen lds
	v_lshlrev_b32_e32 v95, 2, v118
	s_mov_b32 m0, s13
	s_add_i32 s18, 0, 0x5f00
	s_mul_i32 s0, s0, s1
	buffer_load_dword v95, s[24:27], 0 offen lds
	v_lshlrev_b32_e32 v95, 2, v119
	s_mov_b32 m0, s18
	s_add_i32 s1, 0, 0x6000
	v_lshl_add_u32 v67, s0, 2, v67
	buffer_load_dword v95, s[24:27], 0 offen lds
	v_lshlrev_b32_e32 v95, 2, v120
	s_mov_b32 m0, s1
	s_add_i32 s0, 0, 0x6100
	buffer_load_dword v95, s[24:27], 0 offen lds
	v_lshlrev_b32_e32 v95, 2, v121
	s_mov_b32 m0, s0
	s_add_i32 s19, 0, 0x6200
	;; [unrolled: 4-line block ×3, first 2 shown]
	v_writelane_b32 v248, s37, 44
	buffer_load_dword v95, s[24:27], 0 offen lds
	v_lshlrev_b32_e32 v95, 2, v123
	s_mov_b32 m0, s28
	s_add_i32 s29, 0, 0x6400
	v_writelane_b32 v248, s38, 45
	buffer_load_dword v95, s[24:27], 0 offen lds
	v_lshlrev_b32_e32 v95, 2, v124
	s_mov_b32 m0, s29
	s_add_i32 s30, 0, 0x6500
	;; [unrolled: 5-line block ×7, first 2 shown]
	buffer_load_dword v95, s[24:27], 0 offen lds
	v_lshlrev_b32_e32 v95, 2, v130
	s_mov_b32 m0, s36
	s_add_i32 s37, 0, 0x6b00
	buffer_load_dword v95, s[24:27], 0 offen lds
	v_lshlrev_b32_e32 v95, 2, v131
	s_mov_b32 m0, s37
	s_add_i32 s38, 0, 0x6c00
	;; [unrolled: 4-line block ×21, first 2 shown]
	buffer_load_dword v83, s[24:27], 0 offen lds
	s_mov_b32 m0, s57
	v_writelane_b32 v248, s59, 51
	buffer_load_dword v82, s[24:27], 0 offen lds
	s_load_dword s59, s[62:63], 0x128
	v_and_b32_e32 v1, 31, v0
	s_max_i32 s58, s58, 2
	v_add_u32_e32 v98, 0x100, v18
	v_mov_b32_e32 v18, 0
	s_waitcnt lgkmcnt(0)
	v_writelane_b32 v248, s59, 52
	s_mov_b32 s59, s60
	s_load_dwordx2 s[60:61], s[62:63], 0xd8
	v_lshl_or_b32 v82, v1, 8, v3
	v_lshlrev_b32_e32 v83, 2, v2
	v_add_u32_e32 v84, 0x100, v4
	v_add_u32_e32 v85, 0x100, v5
	s_waitcnt lgkmcnt(0)
	v_writelane_b32 v248, s60, 53
	v_add_u32_e32 v86, 0x100, v6
	v_add_u32_e32 v87, 0x100, v7
	v_writelane_b32 v248, s61, 54
	s_load_dwordx2 s[60:61], s[62:63], 0x118
	v_add_u32_e32 v88, 0x100, v8
	v_add_u32_e32 v89, 0x100, v9
	v_add_u32_e32 v90, 0x100, v10
	v_add_u32_e32 v91, 0x100, v11
	s_waitcnt lgkmcnt(0)
	v_writelane_b32 v248, s60, 55
	v_add_u32_e32 v92, 0x100, v12
	v_add_u32_e32 v93, 0x100, v13
	v_writelane_b32 v248, s61, 56
	s_load_dwordx2 s[60:61], s[62:63], 0x20
	v_readlane_b32 s63, v248, 40
	v_add_u32_e32 v94, 0x100, v14
	v_add_u32_e32 v95, 0x100, v15
	;; [unrolled: 1-line block ×3, first 2 shown]
	s_waitcnt lgkmcnt(0)
	v_writelane_b32 v248, s60, 57
	v_add_u32_e32 v97, 0x100, v17
	v_add_u32_e32 v99, 0x100, v19
	v_writelane_b32 v248, s61, 58
	v_writelane_b32 v248, s62, 59
	;; [unrolled: 1-line block ×3, first 2 shown]
	v_add_u32_e32 v100, 0x100, v20
	v_add_u32_e32 v101, 0x100, v21
	;; [unrolled: 1-line block ×112, first 2 shown]
	s_add_i32 s58, s58, -1
	v_mov_b32_e32 v19, v18
	v_mov_b32_e32 v20, v18
	;; [unrolled: 1-line block ×63, first 2 shown]
	v_readlane_b32 s61, v248, 8
	v_readlane_b32 s60, v248, 7
.LBB1_1:                                ; =>This Inner Loop Header: Depth=1
	;;#ASMSTART
	    s_waitcnt vmcnt(0) 
     s_waitcnt lgkmcnt(0) 
     s_barrier     
	;;#ASMEND
	s_waitcnt vmcnt(0)
	ds_read_b128 v[66:69], v82
	ds_read_b128 v[70:73], v82 offset:16384
	ds_read_b128 v[74:77], v82 offset:24576
	ds_read_b128 v[78:81], v82 offset:8192
	v_add_u32_e32 v213, v83, v148
	s_waitcnt lgkmcnt(2)
	v_mfma_f32_32x32x2_f32 v[50:65], v66, v70, v[50:65]
	s_mov_b32 m0, 0
	v_readlane_b32 s62, v248, 9
	v_add_u32_e32 v226, v83, v203
	v_add_u32_e32 v227, v83, v202
	;; [unrolled: 1-line block ×13, first 2 shown]
	s_waitcnt lgkmcnt(1)
	v_mfma_f32_32x32x2_f32 v[34:49], v66, v74, v[34:49]
	v_add_u32_e32 v239, v83, v188
	v_add_u32_e32 v240, v83, v187
	;; [unrolled: 1-line block ×9, first 2 shown]
	s_add_i32 s58, s58, -1
	v_add_u32_e32 v148, 0x100, v148
	v_add_u32_e32 v178, 0x100, v178
	;; [unrolled: 1-line block ×5, first 2 shown]
	s_waitcnt lgkmcnt(0)
	v_mfma_f32_32x32x2_f32 v[2:17], v78, v70, v[2:17]
	v_add_u32_e32 v182, 0x100, v182
	v_add_u32_e32 v183, 0x100, v183
	;; [unrolled: 1-line block ×15, first 2 shown]
	v_mfma_f32_32x32x2_f32 v[18:33], v78, v74, v[18:33]
	v_add_u32_e32 v200, 0x100, v200
	v_add_u32_e32 v202, 0x100, v202
	;; [unrolled: 1-line block ×3, first 2 shown]
	v_mfma_f32_32x32x2_f32 v[50:65], v67, v71, v[50:65]
	v_mfma_f32_32x32x2_f32 v[34:49], v67, v75, v[34:49]
	v_mfma_f32_32x32x2_f32 v[2:17], v79, v71, v[2:17]
	v_mfma_f32_32x32x2_f32 v[18:33], v79, v75, v[18:33]
	v_mfma_f32_32x32x2_f32 v[50:65], v68, v72, v[50:65]
	v_mfma_f32_32x32x2_f32 v[34:49], v68, v76, v[34:49]
	v_mfma_f32_32x32x2_f32 v[2:17], v80, v72, v[2:17]
	v_mfma_f32_32x32x2_f32 v[18:33], v80, v76, v[18:33]
	v_mfma_f32_32x32x2_f32 v[50:65], v69, v73, v[50:65]
	v_mfma_f32_32x32x2_f32 v[34:49], v69, v77, v[34:49]
	v_mfma_f32_32x32x2_f32 v[2:17], v81, v73, v[2:17]
	ds_read_b128 v[66:69], v82 offset:16
	ds_read_b128 v[70:73], v82 offset:16400
	v_mfma_f32_32x32x2_f32 v[18:33], v81, v77, v[18:33]
	ds_read_b128 v[74:77], v82 offset:24592
	ds_read_b128 v[78:81], v82 offset:8208
	s_waitcnt lgkmcnt(2)
	v_mfma_f32_32x32x2_f32 v[50:65], v66, v70, v[50:65]
	s_waitcnt lgkmcnt(1)
	v_mfma_f32_32x32x2_f32 v[34:49], v66, v74, v[34:49]
	s_waitcnt lgkmcnt(0)
	v_mfma_f32_32x32x2_f32 v[2:17], v78, v70, v[2:17]
	v_mfma_f32_32x32x2_f32 v[18:33], v78, v74, v[18:33]
	v_mfma_f32_32x32x2_f32 v[50:65], v67, v71, v[50:65]
	v_mfma_f32_32x32x2_f32 v[34:49], v67, v75, v[34:49]
	v_mfma_f32_32x32x2_f32 v[2:17], v79, v71, v[2:17]
	v_mfma_f32_32x32x2_f32 v[18:33], v79, v75, v[18:33]
	v_mfma_f32_32x32x2_f32 v[50:65], v68, v72, v[50:65]
	v_mfma_f32_32x32x2_f32 v[34:49], v68, v76, v[34:49]
	v_mfma_f32_32x32x2_f32 v[2:17], v80, v72, v[2:17]
	v_mfma_f32_32x32x2_f32 v[18:33], v80, v76, v[18:33]
	v_mfma_f32_32x32x2_f32 v[50:65], v69, v73, v[50:65]
	v_mfma_f32_32x32x2_f32 v[34:49], v69, v77, v[34:49]
	v_mfma_f32_32x32x2_f32 v[2:17], v81, v73, v[2:17]
	ds_read_b128 v[66:69], v82 offset:32
	ds_read_b128 v[70:73], v82 offset:16416
	v_mfma_f32_32x32x2_f32 v[18:33], v81, v77, v[18:33]
	ds_read_b128 v[74:77], v82 offset:24608
	ds_read_b128 v[78:81], v82 offset:8224
	s_waitcnt lgkmcnt(2)
	v_mfma_f32_32x32x2_f32 v[50:65], v66, v70, v[50:65]
	s_waitcnt lgkmcnt(1)
	v_mfma_f32_32x32x2_f32 v[34:49], v66, v74, v[34:49]
	s_waitcnt lgkmcnt(0)
	v_mfma_f32_32x32x2_f32 v[2:17], v78, v70, v[2:17]
	v_mfma_f32_32x32x2_f32 v[18:33], v78, v74, v[18:33]
	;; [unrolled: 23-line block ×5, first 2 shown]
	v_mfma_f32_32x32x2_f32 v[34:49], v67, v75, v[34:49]
	v_mfma_f32_32x32x2_f32 v[18:33], v78, v74, v[18:33]
	;; [unrolled: 1-line block ×9, first 2 shown]
	ds_read_b128 v[68:71], v82 offset:96
	ds_read_b128 v[214:217], v82 offset:16480
	;; [unrolled: 1-line block ×4, first 2 shown]
	v_mfma_f32_32x32x2_f32 v[18:33], v80, v76, v[18:33]
	v_mfma_f32_32x32x2_f32 v[2:17], v81, v73, v[2:17]
	s_waitcnt lgkmcnt(2)
	v_mfma_f32_32x32x2_f32 v[50:65], v68, v214, v[50:65]
	s_waitcnt lgkmcnt(1)
	v_mfma_f32_32x32x2_f32 v[34:49], v68, v218, v[34:49]
	v_mfma_f32_32x32x2_f32 v[18:33], v81, v77, v[18:33]
	s_waitcnt lgkmcnt(0)
	v_mfma_f32_32x32x2_f32 v[2:17], v222, v214, v[2:17]
	v_add_u32_e32 v214, v83, v212
	v_add_u32_e32 v212, 0x100, v212
	v_mfma_f32_32x32x2_f32 v[50:65], v69, v215, v[50:65]
	v_mfma_f32_32x32x2_f32 v[34:49], v69, v219, v[34:49]
	ds_read_b128 v[78:81], v82 offset:112
	ds_read_b128 v[66:69], v82 offset:16496
	v_mfma_f32_32x32x2_f32 v[18:33], v222, v218, v[18:33]
	v_add_u32_e32 v218, v83, v209
	v_add_u32_e32 v222, v83, v206
	;; [unrolled: 1-line block ×4, first 2 shown]
	v_mfma_f32_32x32x2_f32 v[2:17], v223, v215, v[2:17]
	v_add_u32_e32 v215, v83, v211
	v_add_u32_e32 v211, 0x100, v211
	v_mfma_f32_32x32x2_f32 v[50:65], v70, v216, v[50:65]
	v_mfma_f32_32x32x2_f32 v[34:49], v70, v220, v[34:49]
	;; [unrolled: 1-line block ×3, first 2 shown]
	v_add_u32_e32 v219, v83, v208
	v_add_u32_e32 v223, v83, v205
	;; [unrolled: 1-line block ×4, first 2 shown]
	v_mfma_f32_32x32x2_f32 v[2:17], v224, v216, v[2:17]
	v_add_u32_e32 v216, v83, v210
	v_add_u32_e32 v210, 0x100, v210
	v_mfma_f32_32x32x2_f32 v[50:65], v71, v217, v[50:65]
	v_mfma_f32_32x32x2_f32 v[34:49], v71, v221, v[34:49]
	ds_read_b128 v[70:73], v82 offset:24688
	ds_read_b128 v[74:77], v82 offset:8304
	;;#ASMSTART
	    s_waitcnt vmcnt(0) 
     s_waitcnt lgkmcnt(0) 
     s_barrier     
	;;#ASMEND
	buffer_load_dword v213, s[20:23], 0 offen lds
	s_mov_b32 m0, s59
	v_add_u32_e32 v213, v83, v177
	buffer_load_dword v214, s[20:23], 0 offen lds
	s_mov_b32 m0, s60
	v_add_u32_e32 v214, v83, v176
	;; [unrolled: 3-line block ×3, first 2 shown]
	buffer_load_dword v216, s[20:23], 0 offen lds
	s_mov_b32 m0, s62
	v_readlane_b32 s62, v248, 10
	buffer_load_dword v218, s[20:23], 0 offen lds
	s_mov_b32 m0, s62
	v_readlane_b32 s62, v248, 11
	v_mfma_f32_32x32x2_f32 v[18:33], v224, v220, v[18:33]
	v_add_u32_e32 v220, v83, v207
	buffer_load_dword v219, s[20:23], 0 offen lds
	s_mov_b32 m0, s62
	v_readlane_b32 s62, v248, 12
	buffer_load_dword v220, s[20:23], 0 offen lds
	s_mov_b32 m0, s62
	v_readlane_b32 s62, v248, 13
	buffer_load_dword v222, s[20:23], 0 offen lds
	s_mov_b32 m0, s62
	v_readlane_b32 s62, v248, 14
	v_add_u32_e32 v224, v83, v204
	buffer_load_dword v223, s[20:23], 0 offen lds
	s_mov_b32 m0, s62
	v_readlane_b32 s62, v248, 15
	buffer_load_dword v224, s[20:23], 0 offen lds
	s_mov_b32 m0, s62
	v_readlane_b32 s62, v248, 16
	;; [unrolled: 3-line block ×3, first 2 shown]
	v_mfma_f32_32x32x2_f32 v[2:17], v225, v217, v[2:17]
	v_add_u32_e32 v217, v83, v201
	buffer_load_dword v227, s[20:23], 0 offen lds
	s_mov_b32 m0, s62
	v_readlane_b32 s62, v248, 18
	buffer_load_dword v217, s[20:23], 0 offen lds
	s_mov_b32 m0, s62
	v_readlane_b32 s62, v248, 19
	;; [unrolled: 3-line block ×4, first 2 shown]
	buffer_load_dword v230, s[20:23], 0 offen lds
	s_add_i32 m0, 0, 0x1000
	v_mfma_f32_32x32x2_f32 v[18:33], v225, v221, v[18:33]
	buffer_load_dword v231, s[20:23], 0 offen lds
	s_mov_b32 m0, s62
	v_readlane_b32 s62, v248, 22
	buffer_load_dword v232, s[20:23], 0 offen lds
	s_mov_b32 m0, s62
	v_readlane_b32 s62, v248, 23
	;; [unrolled: 3-line block ×10, first 2 shown]
	v_add_u32_e32 v221, v83, v185
	buffer_load_dword v241, s[20:23], 0 offen lds
	s_mov_b32 m0, s62
	v_readlane_b32 s62, v248, 32
	v_add_u32_e32 v225, v83, v184
	buffer_load_dword v221, s[20:23], 0 offen lds
	s_mov_b32 m0, s62
	v_readlane_b32 s62, v248, 33
	buffer_load_dword v225, s[20:23], 0 offen lds
	s_mov_b32 m0, s62
	v_readlane_b32 s62, v248, 34
	;; [unrolled: 3-line block ×4, first 2 shown]
	buffer_load_dword v244, s[20:23], 0 offen lds
	s_add_i32 m0, 0, 0x2000
	v_add_u32_e32 v216, v83, v174
	buffer_load_dword v245, s[20:23], 0 offen lds
	s_mov_b32 m0, s62
	v_readlane_b32 s62, v248, 37
	buffer_load_dword v246, s[20:23], 0 offen lds
	s_mov_b32 m0, s62
	v_readlane_b32 s62, v248, 38
	;; [unrolled: 3-line block ×4, first 2 shown]
	buffer_load_dword v214, s[20:23], 0 offen lds
	s_mov_b32 m0, s63
	v_add_u32_e32 v218, v83, v173
	buffer_load_dword v215, s[20:23], 0 offen lds
	s_mov_b32 m0, s62
	v_readlane_b32 s62, v248, 42
	buffer_load_dword v216, s[20:23], 0 offen lds
	s_mov_b32 m0, s62
	v_add_u32_e32 v219, v83, v172
	buffer_load_dword v218, s[20:23], 0 offen lds
	s_mov_b32 m0, s64
	v_add_u32_e32 v220, v83, v171
	;; [unrolled: 3-line block ×9, first 2 shown]
	buffer_load_dword v217, s[20:23], 0 offen lds
	s_add_i32 m0, 0, 0x3000
	v_add_u32_e32 v229, v83, v163
	buffer_load_dword v228, s[20:23], 0 offen lds
	s_mov_b32 m0, s72
	v_add_u32_e32 v230, v83, v162
	buffer_load_dword v229, s[20:23], 0 offen lds
	s_mov_b32 m0, s73
	;; [unrolled: 3-line block ×28, first 2 shown]
	v_add_u32_e32 v222, v83, v135
	buffer_load_dword v220, s[24:27], 0 offen lds
	s_mov_b32 m0, vcc_lo
	v_add_u32_e32 v223, v83, v134
	buffer_load_dword v222, s[24:27], 0 offen lds
	s_mov_b32 m0, vcc_hi
	v_add_u32_e32 v224, v83, v133
	buffer_load_dword v223, s[24:27], 0 offen lds
	s_mov_b32 m0, s15
	v_add_u32_e32 v226, v83, v132
	buffer_load_dword v224, s[24:27], 0 offen lds
	s_mov_b32 m0, s2
	;; [unrolled: 3-line block ×39, first 2 shown]
	s_waitcnt lgkmcnt(2)
	v_mfma_f32_32x32x2_f32 v[50:65], v78, v66, v[50:65]
	buffer_load_dword v217, s[24:27], 0 offen lds
	s_mov_b32 m0, s48
	v_add_u32_e32 v228, v83, v93
	v_add_u32_e32 v229, v83, v92
	;; [unrolled: 1-line block ×13, first 2 shown]
	s_waitcnt lgkmcnt(1)
	v_mfma_f32_32x32x2_f32 v[34:49], v78, v70, v[34:49]
	v_add_u32_e32 v78, v83, v94
	buffer_load_dword v78, s[24:27], 0 offen lds
	s_mov_b32 m0, s49
	v_add_u32_e32 v90, 0x100, v90
	buffer_load_dword v228, s[24:27], 0 offen lds
	s_mov_b32 m0, s50
	;; [unrolled: 3-line block ×5, first 2 shown]
	s_waitcnt lgkmcnt(0)
	v_mfma_f32_32x32x2_f32 v[2:17], v74, v66, v[2:17]
	v_add_u32_e32 v66, v83, v89
	buffer_load_dword v66, s[24:27], 0 offen lds
	s_mov_b32 m0, s54
	v_add_u32_e32 v89, 0x100, v89
	buffer_load_dword v232, s[24:27], 0 offen lds
	s_mov_b32 m0, s55
	;; [unrolled: 3-line block ×4, first 2 shown]
	v_add_u32_e32 v96, 0x100, v96
	buffer_load_dword v235, s[24:27], 0 offen lds
	v_add_u32_e32 v97, 0x100, v97
	v_mfma_f32_32x32x2_f32 v[18:33], v74, v70, v[18:33]
	v_add_u32_e32 v98, 0x100, v98
	v_add_u32_e32 v99, 0x100, v99
	v_add_u32_e32 v100, 0x100, v100
	v_add_u32_e32 v101, 0x100, v101
	v_add_u32_e32 v102, 0x100, v102
	v_add_u32_e32 v103, 0x100, v103
	v_add_u32_e32 v104, 0x100, v104
	v_add_u32_e32 v105, 0x100, v105
	v_add_u32_e32 v106, 0x100, v106
	v_add_u32_e32 v107, 0x100, v107
	v_add_u32_e32 v108, 0x100, v108
	v_add_u32_e32 v109, 0x100, v109
	v_add_u32_e32 v110, 0x100, v110
	v_add_u32_e32 v111, 0x100, v111
	v_add_u32_e32 v112, 0x100, v112
	v_mfma_f32_32x32x2_f32 v[50:65], v79, v67, v[50:65]
	v_add_u32_e32 v113, 0x100, v113
	v_add_u32_e32 v114, 0x100, v114
	v_add_u32_e32 v115, 0x100, v115
	v_add_u32_e32 v116, 0x100, v116
	v_add_u32_e32 v117, 0x100, v117
	v_add_u32_e32 v118, 0x100, v118
	v_add_u32_e32 v119, 0x100, v119
	v_add_u32_e32 v120, 0x100, v120
	v_add_u32_e32 v121, 0x100, v121
	v_add_u32_e32 v122, 0x100, v122
	v_add_u32_e32 v123, 0x100, v123
	v_add_u32_e32 v124, 0x100, v124
	v_add_u32_e32 v125, 0x100, v125
	v_add_u32_e32 v126, 0x100, v126
	;; [unrolled: 16-line block ×5, first 2 shown]
	v_add_u32_e32 v173, 0x100, v173
	v_mfma_f32_32x32x2_f32 v[50:65], v80, v68, v[50:65]
	v_add_u32_e32 v174, 0x100, v174
	v_add_u32_e32 v175, 0x100, v175
	;; [unrolled: 1-line block ×9, first 2 shown]
	s_cmp_lg_u32 s58, 0
	v_mfma_f32_32x32x2_f32 v[34:49], v80, v72, v[34:49]
	v_mfma_f32_32x32x2_f32 v[2:17], v76, v68, v[2:17]
	v_mfma_f32_32x32x2_f32 v[18:33], v76, v72, v[18:33]
	v_mfma_f32_32x32x2_f32 v[50:65], v81, v69, v[50:65]
	v_mfma_f32_32x32x2_f32 v[34:49], v81, v73, v[34:49]
	v_mfma_f32_32x32x2_f32 v[2:17], v77, v69, v[2:17]
	v_mfma_f32_32x32x2_f32 v[18:33], v77, v73, v[18:33]
	s_cbranch_scc1 .LBB1_1
; %bb.2:
	;;#ASMSTART
	    s_waitcnt vmcnt(0) 
     s_waitcnt lgkmcnt(0) 
     s_barrier     
	;;#ASMEND
	s_waitcnt vmcnt(0)
	ds_read_b128 v[190:193], v82
	ds_read_b128 v[118:121], v82 offset:16384
	ds_read_b128 v[186:189], v82 offset:16
	;; [unrolled: 1-line block ×7, first 2 shown]
	s_waitcnt lgkmcnt(6)
	v_mfma_f32_32x32x2_f32 v[50:65], v190, v118, v[50:65]
	ds_read_b128 v[174:177], v82 offset:64
	ds_read_b128 v[86:89], v82 offset:16448
	;; [unrolled: 1-line block ×22, first 2 shown]
	v_lshrrev_b32_e32 v195, 1, v0
	v_and_b32_e32 v204, 28, v194
	v_readlane_b32 s0, v248, 6
	v_lshlrev_b32_e32 v194, 4, v0
	v_and_b32_e32 v195, 28, v195
	v_lshl_or_b32 v0, s0, 6, v204
	v_readlane_b32 s0, v248, 5
	v_lshlrev_b32_e32 v1, 2, v1
	v_readlane_b32 s6, v248, 4
	v_lshl_or_b32 v205, s0, 6, v195
	v_mfma_f32_32x32x2_f32 v[50:65], v191, v119, v[50:65]
	v_readlane_b32 s16, v248, 51
	s_movk_i32 s2, 0x200
	v_mad_u64_u32 v[196:197], s[0:1], v205, s6, v[0:1]
	v_mad_u64_u32 v[200:201], s[0:1], v205, s16, v[0:1]
	v_readlane_b32 s8, v248, 43
	v_readlane_b32 s0, v248, 53
	;; [unrolled: 1-line block ×9, first 2 shown]
	v_mfma_f32_32x32x2_f32 v[50:65], v192, v120, v[50:65]
	v_readlane_b32 s15, v248, 50
	s_mov_b64 s[8:9], s[12:13]
	ds_read_b128 v[74:77], v82 offset:8304
	ds_read_b128 v[82:85], v82 offset:8288
	s_waitcnt lgkmcnt(0)
	; wave barrier
	s_lshl_b32 s22, s0, 2
	s_mov_b64 s[10:11], s[14:15]
	s_and_b32 s21, s9, 0xffff
	s_mov_b32 s23, 0x20000
	s_mov_b32 s20, s8
	v_readlane_b32 s0, v248, 55
	s_lshl_b32 s26, s0, 2
	s_and_b32 s25, s11, 0xffff
	s_mov_b32 s24, s10
	s_mov_b32 s27, s23
	v_readlane_b32 s1, v248, 56
	v_mfma_f32_32x32x2_f32 v[50:65], v193, v121, v[50:65]
	v_readlane_b32 s12, v248, 57
	v_readlane_b32 s14, v248, 59
	;; [unrolled: 1-line block ×3, first 2 shown]
	s_mov_b32 s11, 0xbfcc4231
	s_mov_b32 s10, 0x3fb8aa3b
	;; [unrolled: 1-line block ×4, first 2 shown]
	v_readlane_b32 s13, v248, 58
	v_readlane_b32 s15, v248, 60
	s_and_b32 s13, s13, 0xffff
	s_mov_b32 s15, s23
	v_mfma_f32_32x32x2_f32 v[50:65], v186, v110, v[50:65]
	v_mfma_f32_32x32x2_f32 v[50:65], v187, v111, v[50:65]
	;; [unrolled: 1-line block ×22, first 2 shown]
	v_and_or_b32 v190, v194, s2, v1
	v_add_u32_e32 v194, 0x400, v190
	v_lshlrev_b32_e32 v1, 2, v196
	v_readlane_b32 s0, v248, 0
	v_readlane_b32 s1, v248, 1
	s_lshl_b32 s14, s0, 2
	v_readlane_b32 s2, v248, 2
	v_readlane_b32 s3, v248, 3
	v_mfma_f32_32x32x2_f32 v[50:65], v167, v71, v[50:65]
	v_mfma_f32_32x32x2_f32 v[34:49], v191, v159, v[34:49]
	v_add_u32_e32 v191, s16, v200
	v_mfma_f32_32x32x2_f32 v[50:65], v168, v72, v[50:65]
	v_mfma_f32_32x32x2_f32 v[34:49], v192, v160, v[34:49]
	;; [unrolled: 1-line block ×11, first 2 shown]
	s_nop 15
	s_nop 1
	ds_write2_b32 v190, v50, v51 offset1:32
	ds_write2_b32 v190, v52, v53 offset0:64 offset1:96
	v_mfma_f32_32x32x2_f32 v[34:49], v189, v157, v[34:49]
	ds_write2_b32 v194, v56, v57 offset0:64 offset1:96
	ds_write2_b32 v194, v54, v55 offset1:32
	v_add_u32_e32 v54, 0x800, v190
	v_add_u32_e32 v55, 0xc00, v190
	ds_write2_b32 v54, v58, v59 offset1:32
	ds_write2_b32 v54, v60, v61 offset0:64 offset1:96
	ds_write2_b32 v55, v64, v65 offset0:64 offset1:96
	ds_write2_b32 v55, v62, v63 offset1:32
	s_waitcnt lgkmcnt(0)
	; wave barrier
	buffer_load_dwordx4 v[58:61], v1, s[20:23], 0 offen
	v_lshlrev_b32_e32 v1, 2, v200
	v_add_u32_e32 v57, s6, v196
	buffer_load_dwordx4 v[62:65], v1, s[24:27], 0 offen
	v_lshlrev_b32_e32 v1, 2, v57
	buffer_load_dwordx4 v[196:199], v1, s[20:23], 0 offen
	v_lshlrev_b32_e32 v1, 2, v191
	;; [unrolled: 2-line block ×3, first 2 shown]
	v_mfma_f32_32x32x2_f32 v[34:49], v182, v150, v[34:49]
	v_lshl_or_b32 v53, v195, 7, v1
	v_mad_u64_u32 v[0:1], s[0:1], v205, s7, v[0:1]
	ds_read_b128 v[204:207], v53
	ds_read_b128 v[208:211], v53 offset:128
	v_lshlrev_b32_e32 v192, 2, v0
	v_add_u32_e32 v56, s7, v0
	v_mov_b32_e32 v52, 0x7f800000
	v_add_u32_e32 v57, s6, v57
	v_add_u32_e32 v191, s16, v191
	s_waitcnt vmcnt(3) lgkmcnt(1)
	v_add_f32_e64 v50, v204, v58
	v_add_f32_e64 v51, v205, v59
	v_mfma_f32_32x32x2_f32 v[34:49], v183, v151, v[34:49]
	v_add_f32_e64 v0, v206, v60
	v_add_f32_e64 v1, v207, v61
	s_waitcnt vmcnt(2)
	v_add_f32_e64 v62, v50, v62
	v_add_f32_e64 v63, v51, v63
	v_add_f32_e64 v64, v0, v64
	v_add_f32_e64 v65, v1, v65
	s_waitcnt vmcnt(1) lgkmcnt(0)
	v_add_f32_e64 v58, v210, v198
	v_add_f32_e64 v59, v211, v199
	;; [unrolled: 1-line block ×4, first 2 shown]
	s_waitcnt vmcnt(0)
	v_pk_add_f32 v[0:1], v[58:59], v[202:203]
	v_mul_f32_e32 v58, 0x3d92220c, v62
	v_mul_f32_e32 v59, 0x3d92220c, v63
	v_fma_f32 v58, -v62, v58, s11
	v_pk_add_f32 v[50:51], v[60:61], v[200:201]
	v_mul_f32_e32 v60, 0x3d92220c, v64
	v_fma_f32 v59, -v63, v59, s11
	v_mul_f32_e32 v58, v62, v58
	v_mul_f32_e32 v61, 0x3d92220c, v65
	v_fma_f32 v60, -v64, v60, s11
	v_mfma_f32_32x32x2_f32 v[34:49], v184, v152, v[34:49]
	v_mul_f32_e32 v59, v63, v59
	v_mul_f32_e32 v196, 0x3fb8aa3b, v58
	;; [unrolled: 1-line block ×3, first 2 shown]
	v_fma_f32 v61, -v65, v61, s11
	v_mul_f32_e32 v60, v64, v60
	v_mul_f32_e32 v197, 0x3fb8aa3b, v59
	v_fma_f32 v187, v58, s10, -v196
	v_rndne_f32_e32 v203, v196
	v_fma_f32 v186, -v50, v186, s11
	v_mul_f32_e32 v61, v65, v61
	v_mul_f32_e32 v198, 0x3fb8aa3b, v60
	v_fma_f32 v204, v59, s10, -v197
	v_rndne_f32_e32 v205, v197
	v_fmac_f32_e32 v187, 0x32a5705f, v58
	v_sub_f32_e32 v196, v196, v203
	v_mfma_f32_32x32x2_f32 v[34:49], v185, v153, v[34:49]
	v_mul_f32_e32 v186, v50, v186
	v_mul_f32_e32 v199, 0x3fb8aa3b, v61
	v_fma_f32 v206, v60, s10, -v198
	v_rndne_f32_e32 v207, v198
	v_fmac_f32_e32 v204, 0x32a5705f, v59
	v_sub_f32_e32 v197, v197, v205
	v_add_f32_e32 v187, v196, v187
	v_mul_f32_e32 v200, 0x3fb8aa3b, v186
	v_fma_f32 v208, v61, s10, -v199
	v_rndne_f32_e32 v209, v199
	v_cvt_i32_f32_e32 v203, v203
	v_fmac_f32_e32 v206, 0x32a5705f, v60
	v_sub_f32_e32 v198, v198, v207
	v_add_f32_e32 v196, v197, v204
	v_exp_f32_e32 v187, v187
	v_mfma_f32_32x32x2_f32 v[34:49], v178, v146, v[34:49]
	v_fma_f32 v210, v186, s10, -v200
	v_rndne_f32_e32 v211, v200
	v_cvt_i32_f32_e32 v205, v205
	v_fmac_f32_e32 v208, 0x32a5705f, v61
	v_sub_f32_e32 v199, v199, v209
	v_add_f32_e32 v197, v198, v206
	v_exp_f32_e32 v196, v196
	v_cvt_i32_f32_e32 v207, v207
	v_fmac_f32_e32 v210, 0x32a5705f, v186
	v_sub_f32_e32 v200, v200, v211
	v_add_f32_e32 v198, v199, v208
	v_exp_f32_e32 v197, v197
	v_cvt_i32_f32_e32 v209, v209
	v_add_f32_e32 v199, v200, v210
	v_exp_f32_e32 v198, v198
	v_mfma_f32_32x32x2_f32 v[34:49], v179, v147, v[34:49]
	v_cvt_i32_f32_e32 v211, v211
	v_exp_f32_e32 v199, v199
	v_ldexp_f32 v187, v187, v203
	v_cmp_ngt_f32_e32 vcc, s9, v58
	v_ldexp_f32 v196, v196, v205
	v_ldexp_f32 v197, v197, v207
	v_cndmask_b32_e32 v187, 0, v187, vcc
	v_cmp_ngt_f32_e32 vcc, s9, v59
	v_ldexp_f32 v198, v198, v209
	v_ldexp_f32 v199, v199, v211
	v_cndmask_b32_e32 v196, 0, v196, vcc
	v_cmp_ngt_f32_e32 vcc, s9, v60
	v_mul_f32_e32 v193, 0x3d92220c, v51
	v_fma_f32 v193, -v51, v193, s11
	v_cndmask_b32_e32 v197, 0, v197, vcc
	v_cmp_ngt_f32_e32 vcc, s9, v61
	v_mul_f32_e32 v193, v51, v193
	v_mfma_f32_32x32x2_f32 v[34:49], v180, v148, v[34:49]
	v_cndmask_b32_e32 v198, 0, v198, vcc
	v_cmp_ngt_f32_e32 vcc, s9, v186
	v_mul_f32_e32 v201, 0x3fb8aa3b, v193
	v_mul_f32_e32 v195, 0x3d92220c, v0
	v_cndmask_b32_e32 v199, 0, v199, vcc
	v_cmp_nlt_f32_e32 vcc, s8, v58
	v_fma_f32 v212, v193, s10, -v201
	v_rndne_f32_e32 v213, v201
	v_cndmask_b32_e32 v58, v52, v187, vcc
	v_cmp_nlt_f32_e32 vcc, s8, v59
	v_fma_f32 v195, -v0, v195, s11
	v_fmac_f32_e32 v212, 0x32a5705f, v193
	v_cndmask_b32_e32 v59, v52, v196, vcc
	v_cmp_nlt_f32_e32 vcc, s8, v60
	v_pk_add_f32 v[58:59], v[58:59], 1.0 op_sel_hi:[1,0]
	v_sub_f32_e32 v201, v201, v213
	v_cndmask_b32_e32 v60, v52, v197, vcc
	v_cmp_nlt_f32_e32 vcc, s8, v61
	v_div_scale_f32 v203, s[4:5], v58, v58, 1.0
	s_nop 0
	v_cndmask_b32_e32 v61, v52, v198, vcc
	v_pk_add_f32 v[60:61], v[60:61], 1.0 op_sel_hi:[1,0]
	v_cmp_nlt_f32_e32 vcc, s8, v186
	v_div_scale_f32 v187, s[0:1], v61, v61, 1.0
	v_div_scale_f32 v197, s[0:1], v60, v60, 1.0
	v_rcp_f32_e32 v205, v187
	v_cndmask_b32_e32 v186, v52, v199, vcc
	v_div_scale_f32 v199, s[2:3], v59, v59, 1.0
	v_rcp_f32_e32 v206, v197
	v_rcp_f32_e32 v207, v199
	v_mul_f32_e32 v195, v0, v195
	v_add_f32_e32 v200, v201, v212
	v_rcp_f32_e32 v208, v203
	v_mul_f32_e32 v202, 0x3fb8aa3b, v195
	v_cvt_i32_f32_e32 v213, v213
	v_exp_f32_e32 v200, v200
	v_fma_f32 v188, -v187, v205, 1.0
	v_fma_f32 v214, v195, s10, -v202
	v_rndne_f32_e32 v215, v202
	v_div_scale_f32 v196, vcc, 1.0, v61, 1.0
	v_fma_f32 v209, -v197, v206, 1.0
	v_fmac_f32_e32 v205, v188, v205
	v_fmac_f32_e32 v214, 0x32a5705f, v195
	v_sub_f32_e32 v202, v202, v215
	v_div_scale_f32 v198, s[0:1], 1.0, v60, 1.0
	v_fma_f32 v210, -v199, v207, 1.0
	v_fmac_f32_e32 v206, v209, v206
	v_mul_f32_e32 v188, v196, v205
	v_add_f32_e32 v201, v202, v214
	v_div_scale_f32 v202, s[2:3], 1.0, v59, 1.0
	v_fma_f32 v211, -v203, v208, 1.0
	v_fmac_f32_e32 v207, v210, v207
	v_mul_f32_e32 v209, v198, v206
	v_fma_f32 v212, -v187, v188, v196
	v_ldexp_f32 v200, v200, v213
	v_div_scale_f32 v204, s[4:5], 1.0, v58, 1.0
	v_fmac_f32_e32 v208, v211, v208
	v_mul_f32_e32 v210, v202, v207
	v_fma_f32 v213, -v197, v209, v198
	v_fmac_f32_e32 v188, v212, v205
	v_mul_f32_e32 v211, v204, v208
	v_fma_f32 v214, -v199, v210, v202
	v_fmac_f32_e32 v209, v213, v206
	v_fma_f32 v187, -v187, v188, v196
	v_fma_f32 v216, -v203, v211, v204
	v_fmac_f32_e32 v210, v214, v207
	v_fma_f32 v196, -v197, v209, v198
	v_div_fmas_f32 v187, v187, v205, v188
	s_mov_b64 vcc, s[0:1]
	v_fmac_f32_e32 v211, v216, v208
	v_fma_f32 v197, -v199, v210, v202
	v_div_fixup_f32 v61, v187, v61, 1.0
	v_div_fmas_f32 v187, v196, v206, v209
	s_mov_b64 vcc, s[2:3]
	v_fma_f32 v198, -v203, v211, v204
	v_div_fixup_f32 v60, v187, v60, 1.0
	v_div_fmas_f32 v187, v197, v207, v210
	s_mov_b64 vcc, s[4:5]
	v_div_fixup_f32 v59, v187, v59, 1.0
	v_div_fmas_f32 v187, v198, v208, v211
	v_div_fixup_f32 v58, v187, v58, 1.0
	v_pk_mul_f32 v[60:61], v[64:65], v[60:61]
	v_pk_mul_f32 v[58:59], v[62:63], v[58:59]
	v_mfma_f32_32x32x2_f32 v[34:49], v181, v149, v[34:49]
	buffer_store_dwordx4 v[58:61], v192, s[12:15], 0 offen
	v_cvt_i32_f32_e32 v215, v215
	v_exp_f32_e32 v201, v201
	v_mul_f32_e32 v59, 0x3d92220c, v1
	v_fma_f32 v59, -v1, v59, s11
	v_mul_f32_e32 v189, v1, v59
	v_mul_f32_e32 v59, 0x3fb8aa3b, v189
	v_fma_f32 v60, v189, s10, -v59
	v_rndne_f32_e32 v61, v59
	v_fmac_f32_e32 v60, 0x32a5705f, v189
	v_sub_f32_e32 v59, v59, v61
	v_add_f32_e32 v59, v59, v60
	v_exp_f32_e32 v59, v59
	v_cvt_i32_f32_e32 v60, v61
	v_cmp_ngt_f32_e32 vcc, s9, v193
	v_ldexp_f32 v58, v201, v215
	v_lshlrev_b32_e32 v62, 2, v191
	v_cndmask_b32_e32 v187, 0, v200, vcc
	v_cmp_ngt_f32_e32 vcc, s9, v195
	buffer_load_dwordx4 v[62:65], v62, s[24:27], 0 offen
	v_mfma_f32_32x32x2_f32 v[34:49], v174, v142, v[34:49]
	v_cndmask_b32_e32 v58, 0, v58, vcc
	v_cmp_nlt_f32_e32 vcc, s8, v195
	v_add_u32_e32 v179, s16, v191
	s_mul_i32 s2, s7, -3
	v_cndmask_b32_e32 v188, v52, v58, vcc
	v_ldexp_f32 v58, v59, v60
	v_cmp_ngt_f32_e32 vcc, s9, v189
	s_nop 1
	v_cndmask_b32_e32 v182, 0, v58, vcc
	v_lshlrev_b32_e32 v58, 2, v57
	buffer_load_dwordx4 v[58:61], v58, s[20:23], 0 offen
	v_cmp_nlt_f32_e32 vcc, s8, v189
	v_mfma_f32_32x32x2_f32 v[34:49], v175, v143, v[34:49]
	s_nop 0
	v_cndmask_b32_e32 v189, v52, v182, vcc
	v_add_f32_e64 v188, v188, 1.0
	v_add_f32_e64 v189, v189, 1.0
	v_cmp_nlt_f32_e32 vcc, s8, v193
	v_div_scale_f32 v192, s[0:1], v189, v189, 1.0
	v_rcp_f32_e32 v195, v192
	v_cndmask_b32_e32 v187, v52, v187, vcc
	v_pk_add_f32 v[182:183], v[186:187], 1.0 op_sel_hi:[1,0]
	v_fma_f32 v186, -v192, v195, 1.0
	v_fmac_f32_e32 v195, v186, v195
	v_div_scale_f32 v186, vcc, 1.0, v189, 1.0
	v_mul_f32_e32 v187, v186, v195
	v_fma_f32 v193, -v192, v187, v186
	v_mfma_f32_32x32x2_f32 v[34:49], v176, v144, v[34:49]
	v_fmac_f32_e32 v187, v193, v195
	v_fma_f32 v186, -v192, v187, v186
	v_div_scale_f32 v192, s[0:1], v188, v188, 1.0
	v_rcp_f32_e32 v193, v192
	v_div_fmas_f32 v184, v186, v195, v187
	v_div_fixup_f32 v187, v184, v189, 1.0
	v_fma_f32 v184, -v192, v193, 1.0
	v_fmac_f32_e32 v193, v184, v193
	v_div_scale_f32 v184, vcc, 1.0, v188, 1.0
	v_mul_f32_e32 v186, v184, v193
	v_fma_f32 v189, -v192, v186, v184
	v_fmac_f32_e32 v186, v189, v193
	v_mfma_f32_32x32x2_f32 v[34:49], v177, v145, v[34:49]
	v_div_scale_f32 v189, s[0:1], v183, v183, 1.0
	v_fma_f32 v184, -v192, v186, v184
	v_rcp_f32_e32 v192, v189
	v_div_fmas_f32 v184, v184, v193, v186
	v_div_fixup_f32 v186, v184, v188, 1.0
	v_fma_f32 v184, -v189, v192, 1.0
	v_fmac_f32_e32 v192, v184, v192
	v_div_scale_f32 v184, vcc, 1.0, v183, 1.0
	v_mul_f32_e32 v185, v184, v192
	v_fma_f32 v188, -v189, v185, v184
	v_fmac_f32_e32 v185, v188, v192
	v_div_scale_f32 v188, s[0:1], v182, v182, 1.0
	v_fma_f32 v184, -v189, v185, v184
	v_rcp_f32_e32 v189, v188
	v_mfma_f32_32x32x2_f32 v[34:49], v170, v138, v[34:49]
	v_div_fmas_f32 v184, v184, v192, v185
	v_div_fixup_f32 v183, v184, v183, 1.0
	v_fma_f32 v178, -v188, v189, 1.0
	v_fmac_f32_e32 v189, v178, v189
	v_div_scale_f32 v178, vcc, 1.0, v182, 1.0
	v_mul_f32_e32 v184, v178, v189
	v_fma_f32 v185, -v188, v184, v178
	v_fmac_f32_e32 v184, v185, v189
	v_fma_f32 v178, -v188, v184, v178
	v_div_fmas_f32 v178, v178, v189, v184
	v_div_fixup_f32 v182, v178, v182, 1.0
	v_mul_f32_e64 v184, v0, v186
	v_mul_f32_e64 v185, v1, v187
	v_pk_mul_f32 v[182:183], v[50:51], v[182:183]
	v_lshlrev_b32_e32 v0, 2, v56
	buffer_store_dwordx4 v[182:185], v0, s[12:15], 0 offen
	ds_read_b128 v[182:185], v53 offset:256
	ds_read_b128 v[186:189], v53 offset:384
	v_add_u32_e32 v178, s6, v57
	v_lshlrev_b32_e32 v0, 2, v178
	buffer_load_dwordx4 v[196:199], v0, s[20:23], 0 offen
	v_lshlrev_b32_e32 v50, 2, v179
	buffer_load_dwordx4 v[200:203], v50, s[24:27], 0 offen
	v_mfma_f32_32x32x2_f32 v[34:49], v171, v139, v[34:49]
	s_waitcnt vmcnt(3) lgkmcnt(1)
	v_add_f32_e64 v0, v182, v58
	v_add_f32_e64 v1, v183, v59
	;; [unrolled: 1-line block ×4, first 2 shown]
	v_add_u32_e32 v62, s7, v56
	v_mul_f32_e32 v50, 0x3d92220c, v0
	v_fma_f32 v50, -v0, v50, s11
	v_mul_f32_e32 v57, v0, v50
	v_mul_f32_e32 v50, 0x3fb8aa3b, v57
	v_fma_f32 v51, v57, s10, -v50
	v_rndne_f32_e32 v58, v50
	v_fmac_f32_e32 v51, 0x32a5705f, v57
	v_sub_f32_e32 v50, v50, v58
	v_add_f32_e32 v50, v50, v51
	v_exp_f32_e32 v59, v50
	v_cvt_i32_f32_e32 v58, v58
	v_cmp_ngt_f32_e32 vcc, s9, v57
	v_pk_add_f32 v[50:51], v[184:185], v[60:61]
	v_mfma_f32_32x32x2_f32 v[34:49], v172, v140, v[34:49]
	v_ldexp_f32 v56, v59, v58
	v_cndmask_b32_e32 v56, 0, v56, vcc
	v_cmp_nlt_f32_e32 vcc, s8, v57
	v_mul_f32_e32 v57, 0x3d92220c, v1
	v_fma_f32 v57, -v1, v57, s11
	v_mul_f32_e32 v57, v1, v57
	v_mul_f32_e32 v58, 0x3fb8aa3b, v57
	v_fma_f32 v59, v57, s10, -v58
	v_rndne_f32_e32 v60, v58
	v_add_f32_e64 v50, v50, v64
	v_add_f32_e64 v51, v51, v65
	v_fmac_f32_e32 v59, 0x32a5705f, v57
	v_sub_f32_e32 v58, v58, v60
	v_add_f32_e32 v58, v58, v59
	v_cvt_i32_f32_e32 v59, v60
	v_mul_f32_e32 v60, 0x3d92220c, v50
	v_fma_f32 v60, -v50, v60, s11
	v_mul_f32_e32 v60, v50, v60
	v_mul_f32_e32 v61, 0x3fb8aa3b, v60
	v_exp_f32_e32 v58, v58
	v_fma_f32 v63, v60, s10, -v61
	v_rndne_f32_e32 v64, v61
	v_fmac_f32_e32 v63, 0x32a5705f, v60
	v_sub_f32_e32 v61, v61, v64
	v_add_f32_e32 v61, v61, v63
	v_exp_f32_e32 v61, v61
	v_cvt_i32_f32_e32 v63, v64
	v_ldexp_f32 v58, v58, v59
	v_mul_f32_e32 v59, 0x3d92220c, v51
	v_fma_f32 v59, -v51, v59, s11
	v_cndmask_b32_e32 v56, v52, v56, vcc
	v_cmp_ngt_f32_e32 vcc, s9, v57
	v_mul_f32_e32 v59, v51, v59
	v_mfma_f32_32x32x2_f32 v[34:49], v173, v141, v[34:49]
	v_cndmask_b32_e32 v64, 0, v58, vcc
	v_ldexp_f32 v58, v61, v63
	v_mul_f32_e32 v61, 0x3fb8aa3b, v59
	v_fma_f32 v63, v59, s10, -v61
	v_rndne_f32_e32 v65, v61
	v_fmac_f32_e32 v63, 0x32a5705f, v59
	v_sub_f32_e32 v61, v61, v65
	v_add_f32_e32 v61, v61, v63
	v_exp_f32_e32 v61, v61
	v_cvt_i32_f32_e32 v63, v65
	v_cmp_ngt_f32_e32 vcc, s9, v60
	s_nop 1
	v_cndmask_b32_e32 v58, 0, v58, vcc
	v_cmp_nlt_f32_e32 vcc, s8, v60
	v_ldexp_f32 v60, v61, v63
	v_mfma_f32_32x32x2_f32 v[34:49], v166, v134, v[34:49]
	v_cndmask_b32_e32 v58, v52, v58, vcc
	v_cmp_ngt_f32_e32 vcc, s9, v59
	s_nop 1
	v_cndmask_b32_e32 v60, 0, v60, vcc
	v_cmp_nlt_f32_e32 vcc, s8, v59
	s_nop 1
	v_cndmask_b32_e32 v59, v52, v60, vcc
	v_add_f32_e64 v58, v58, 1.0
	v_add_f32_e64 v59, v59, 1.0
	v_cmp_nlt_f32_e32 vcc, s8, v57
	v_div_scale_f32 v60, s[0:1], v59, v59, 1.0
	v_rcp_f32_e32 v61, v60
	v_cndmask_b32_e32 v57, v52, v64, vcc
	v_pk_add_f32 v[56:57], v[56:57], 1.0 op_sel_hi:[1,0]
	v_mfma_f32_32x32x2_f32 v[34:49], v167, v135, v[34:49]
	v_fma_f32 v63, -v60, v61, 1.0
	v_fmac_f32_e32 v61, v63, v61
	v_div_scale_f32 v63, vcc, 1.0, v59, 1.0
	v_mul_f32_e32 v64, v63, v61
	v_fma_f32 v65, -v60, v64, v63
	v_fmac_f32_e32 v64, v65, v61
	v_fma_f32 v60, -v60, v64, v63
	v_div_scale_f32 v63, s[0:1], v58, v58, 1.0
	v_rcp_f32_e32 v65, v63
	v_div_fmas_f32 v60, v60, v61, v64
	v_div_fixup_f32 v59, v60, v59, 1.0
	v_fma_f32 v60, -v63, v65, 1.0
	v_fmac_f32_e32 v65, v60, v65
	v_div_scale_f32 v60, vcc, 1.0, v58, 1.0
	v_mul_f32_e32 v61, v60, v65
	v_fma_f32 v64, -v63, v61, v60
	v_fmac_f32_e32 v61, v64, v65
	v_fma_f32 v60, -v63, v61, v60
	v_div_scale_f32 v63, s[0:1], v57, v57, 1.0
	v_rcp_f32_e32 v64, v63
	v_div_fmas_f32 v60, v60, v65, v61
	v_div_fixup_f32 v58, v60, v58, 1.0
	v_mfma_f32_32x32x2_f32 v[34:49], v168, v136, v[34:49]
	v_fma_f32 v60, -v63, v64, 1.0
	v_fmac_f32_e32 v64, v60, v64
	v_div_scale_f32 v60, vcc, 1.0, v57, 1.0
	v_mul_f32_e32 v61, v60, v64
	v_fma_f32 v65, -v63, v61, v60
	v_fmac_f32_e32 v61, v65, v64
	v_fma_f32 v60, -v63, v61, v60
	v_div_scale_f32 v63, s[0:1], v56, v56, 1.0
	v_rcp_f32_e32 v65, v63
	v_div_fmas_f32 v60, v60, v64, v61
	v_div_fixup_f32 v57, v60, v57, 1.0
	v_pk_mul_f32 v[58:59], v[50:51], v[58:59]
	v_fma_f32 v60, -v63, v65, 1.0
	v_fmac_f32_e32 v65, v60, v65
	v_div_scale_f32 v60, vcc, 1.0, v56, 1.0
	v_mul_f32_e32 v61, v60, v65
	v_fma_f32 v64, -v63, v61, v60
	v_fmac_f32_e32 v61, v64, v65
	v_fma_f32 v60, -v63, v61, v60
	v_div_fmas_f32 v60, v60, v65, v61
	v_div_fixup_f32 v56, v60, v56, 1.0
	v_pk_mul_f32 v[56:57], v[0:1], v[56:57]
	v_lshlrev_b32_e32 v0, 2, v62
	buffer_store_dwordx4 v[56:59], v0, s[12:15], 0 offen
	s_waitcnt vmcnt(2) lgkmcnt(0)
	v_pk_add_f32 v[0:1], v[186:187], v[196:197]
	v_mfma_f32_32x32x2_f32 v[34:49], v169, v137, v[34:49]
	s_waitcnt vmcnt(1)
	v_add_f32_e64 v0, v0, v200
	v_add_f32_e64 v1, v1, v201
	v_add_u32_e32 v64, s7, v62
	v_mul_f32_e32 v50, 0x3d92220c, v0
	v_fma_f32 v50, -v0, v50, s11
	v_mul_f32_e32 v56, v0, v50
	v_mul_f32_e32 v50, 0x3fb8aa3b, v56
	v_fma_f32 v51, v56, s10, -v50
	v_rndne_f32_e32 v57, v50
	v_fmac_f32_e32 v51, 0x32a5705f, v56
	v_sub_f32_e32 v50, v50, v57
	v_add_f32_e32 v50, v50, v51
	v_exp_f32_e32 v58, v50
	v_cvt_i32_f32_e32 v57, v57
	v_cmp_ngt_f32_e32 vcc, s9, v56
	v_pk_add_f32 v[50:51], v[188:189], v[198:199]
	v_mfma_f32_32x32x2_f32 v[34:49], v162, v130, v[34:49]
	v_ldexp_f32 v57, v58, v57
	v_cndmask_b32_e32 v57, 0, v57, vcc
	v_cmp_nlt_f32_e32 vcc, s8, v56
	v_add_f32_e64 v50, v50, v202
	v_add_f32_e64 v51, v51, v203
	v_cndmask_b32_e32 v56, v52, v57, vcc
	v_mul_f32_e32 v57, 0x3d92220c, v1
	v_fma_f32 v57, -v1, v57, s11
	v_mul_f32_e32 v57, v1, v57
	v_mul_f32_e32 v58, 0x3fb8aa3b, v57
	v_fma_f32 v59, v57, s10, -v58
	v_rndne_f32_e32 v60, v58
	v_fmac_f32_e32 v59, 0x32a5705f, v57
	v_sub_f32_e32 v58, v58, v60
	v_add_f32_e32 v58, v58, v59
	v_cvt_i32_f32_e32 v59, v60
	v_mul_f32_e32 v60, 0x3d92220c, v50
	v_fma_f32 v60, -v50, v60, s11
	v_mul_f32_e32 v60, v50, v60
	v_mul_f32_e32 v61, 0x3fb8aa3b, v60
	v_exp_f32_e32 v58, v58
	v_fma_f32 v62, v60, s10, -v61
	v_rndne_f32_e32 v63, v61
	v_fmac_f32_e32 v62, 0x32a5705f, v60
	v_sub_f32_e32 v61, v61, v63
	v_add_f32_e32 v61, v61, v62
	v_exp_f32_e32 v61, v61
	v_cvt_i32_f32_e32 v62, v63
	v_ldexp_f32 v58, v58, v59
	v_mul_f32_e32 v59, 0x3d92220c, v51
	v_fma_f32 v59, -v51, v59, s11
	v_cmp_ngt_f32_e32 vcc, s9, v57
	v_mul_f32_e32 v59, v51, v59
	v_mfma_f32_32x32x2_f32 v[34:49], v163, v131, v[34:49]
	v_cndmask_b32_e32 v63, 0, v58, vcc
	v_ldexp_f32 v58, v61, v62
	v_mul_f32_e32 v61, 0x3fb8aa3b, v59
	v_fma_f32 v62, v59, s10, -v61
	v_rndne_f32_e32 v65, v61
	v_fmac_f32_e32 v62, 0x32a5705f, v59
	v_sub_f32_e32 v61, v61, v65
	v_add_f32_e32 v61, v61, v62
	v_exp_f32_e32 v61, v61
	v_cvt_i32_f32_e32 v62, v65
	v_cmp_ngt_f32_e32 vcc, s9, v60
	s_nop 1
	v_cndmask_b32_e32 v58, 0, v58, vcc
	v_cmp_nlt_f32_e32 vcc, s8, v60
	v_ldexp_f32 v60, v61, v62
	v_mfma_f32_32x32x2_f32 v[18:33], v126, v158, v[18:33]
	v_cndmask_b32_e32 v58, v52, v58, vcc
	v_cmp_ngt_f32_e32 vcc, s9, v59
	s_nop 1
	v_cndmask_b32_e32 v60, 0, v60, vcc
	v_cmp_nlt_f32_e32 vcc, s8, v59
	s_nop 1
	v_cndmask_b32_e32 v59, v52, v60, vcc
	v_add_f32_e64 v58, v58, 1.0
	v_add_f32_e64 v59, v59, 1.0
	v_cmp_nlt_f32_e32 vcc, s8, v57
	v_div_scale_f32 v60, s[0:1], v59, v59, 1.0
	v_rcp_f32_e32 v61, v60
	v_cndmask_b32_e32 v57, v52, v63, vcc
	v_mfma_f32_32x32x2_f32 v[34:49], v164, v132, v[34:49]
	v_add_f32_e64 v56, v56, 1.0
	v_add_f32_e64 v57, v57, 1.0
	v_fma_f32 v62, -v60, v61, 1.0
	v_fmac_f32_e32 v61, v62, v61
	v_div_scale_f32 v62, vcc, 1.0, v59, 1.0
	v_mul_f32_e32 v63, v62, v61
	v_fma_f32 v65, -v60, v63, v62
	v_fmac_f32_e32 v63, v65, v61
	v_fma_f32 v60, -v60, v63, v62
	v_div_scale_f32 v62, s[0:1], v58, v58, 1.0
	v_rcp_f32_e32 v65, v62
	v_div_fmas_f32 v60, v60, v61, v63
	v_div_fixup_f32 v59, v60, v59, 1.0
	v_fma_f32 v60, -v62, v65, 1.0
	v_fmac_f32_e32 v65, v60, v65
	v_div_scale_f32 v60, vcc, 1.0, v58, 1.0
	v_mul_f32_e32 v61, v60, v65
	v_fma_f32 v63, -v62, v61, v60
	v_fmac_f32_e32 v61, v63, v65
	v_fma_f32 v60, -v62, v61, v60
	v_div_scale_f32 v62, s[0:1], v57, v57, 1.0
	v_rcp_f32_e32 v63, v62
	v_div_fmas_f32 v60, v60, v65, v61
	v_mfma_f32_32x32x2_f32 v[18:33], v127, v159, v[18:33]
	v_div_fixup_f32 v58, v60, v58, 1.0
	v_fma_f32 v60, -v62, v63, 1.0
	v_fmac_f32_e32 v63, v60, v63
	v_div_scale_f32 v60, vcc, 1.0, v57, 1.0
	v_mul_f32_e32 v61, v60, v63
	v_fma_f32 v65, -v62, v61, v60
	v_fmac_f32_e32 v61, v65, v63
	v_fma_f32 v60, -v62, v61, v60
	v_div_scale_f32 v62, s[0:1], v56, v56, 1.0
	v_rcp_f32_e32 v65, v62
	v_div_fmas_f32 v60, v60, v63, v61
	v_div_fixup_f32 v57, v60, v57, 1.0
	v_pk_mul_f32 v[58:59], v[50:51], v[58:59]
	v_mfma_f32_32x32x2_f32 v[34:49], v165, v133, v[34:49]
	v_fma_f32 v60, -v62, v65, 1.0
	v_fmac_f32_e32 v65, v60, v65
	v_div_scale_f32 v60, vcc, 1.0, v56, 1.0
	v_mul_f32_e32 v61, v60, v65
	v_fma_f32 v63, -v62, v61, v60
	v_fmac_f32_e32 v61, v63, v65
	v_fma_f32 v60, -v62, v61, v60
	v_div_fmas_f32 v60, v60, v65, v61
	v_div_fixup_f32 v56, v60, v56, 1.0
	v_mul_f32_e64 v56, v0, v56
	v_mul_f32_e64 v57, v1, v57
	v_lshlrev_b32_e32 v0, 2, v64
	s_mul_i32 s0, s6, -3
	buffer_store_dwordx4 v[56:59], v0, s[12:15], 0 offen
	v_add3_u32 v0, s0, 32, v178
	v_mfma_f32_32x32x2_f32 v[18:33], v128, v160, v[18:33]
	s_mul_i32 s1, s16, -3
	v_add_u32_e32 v51, s6, v0
	v_lshlrev_b32_e32 v1, 2, v0
	v_add3_u32 v50, s1, 32, v179
	v_lshlrev_b32_e32 v0, 2, v51
	s_waitcnt lgkmcnt(0)
	; wave barrier
	ds_write2_b32 v190, v34, v35 offset1:32
	ds_write2_b32 v190, v36, v37 offset0:64 offset1:96
	ds_write2_b32 v194, v40, v41 offset0:64 offset1:96
	ds_write2_b32 v194, v38, v39 offset1:32
	ds_write2_b32 v54, v42, v43 offset1:32
	ds_write2_b32 v54, v44, v45 offset0:64 offset1:96
	ds_write2_b32 v55, v48, v49 offset0:64 offset1:96
	ds_write2_b32 v55, v46, v47 offset1:32
	s_waitcnt lgkmcnt(0)
	; wave barrier
	buffer_load_dwordx4 v[34:37], v1, s[20:23], 0 offen
	buffer_load_dwordx4 v[56:59], v0, s[20:23], 0 offen
	v_lshlrev_b32_e32 v1, 2, v50
	buffer_load_dwordx4 v[38:41], v1, s[24:27], 0 offen
	ds_read_b128 v[42:45], v53
	ds_read_b128 v[46:49], v53 offset:128
	v_add_u32_e32 v51, s6, v51
	v_mfma_f32_32x32x2_f32 v[18:33], v129, v161, v[18:33]
	s_sub_i32 s0, s0, 32
	s_waitcnt vmcnt(2) lgkmcnt(1)
	v_add_f32_e64 v0, v42, v34
	v_add_f32_e64 v1, v43, v35
	v_mfma_f32_32x32x2_f32 v[18:33], v122, v154, v[18:33]
	v_add_u32_e32 v42, s16, v50
	v_lshlrev_b32_e32 v34, 2, v42
	s_waitcnt vmcnt(0)
	v_add_f32_e64 v0, v0, v38
	v_add_f32_e64 v1, v1, v39
	buffer_load_dwordx4 v[60:63], v34, s[24:27], 0 offen
	v_mul_f32_e32 v34, 0x3d92220c, v0
	v_fma_f32 v34, -v0, v34, s11
	v_mul_f32_e32 v38, v0, v34
	v_mul_f32_e32 v34, 0x3fb8aa3b, v38
	v_fma_f32 v35, v38, s10, -v34
	v_rndne_f32_e32 v39, v34
	v_fmac_f32_e32 v35, 0x32a5705f, v38
	v_sub_f32_e32 v34, v34, v39
	v_add_f32_e32 v34, v34, v35
	v_exp_f32_e32 v43, v34
	v_cvt_i32_f32_e32 v39, v39
	v_mfma_f32_32x32x2_f32 v[18:33], v123, v155, v[18:33]
	v_add_f32_e64 v34, v44, v36
	v_add_f32_e64 v35, v45, v37
	v_mul_f32_e32 v37, 0x3d92220c, v1
	v_fma_f32 v37, -v1, v37, s11
	v_ldexp_f32 v36, v43, v39
	v_cmp_ngt_f32_e32 vcc, s9, v38
	v_mul_f32_e32 v37, v1, v37
	v_add_f32_e64 v34, v34, v40
	v_add_f32_e64 v35, v35, v41
	v_cndmask_b32_e32 v36, 0, v36, vcc
	v_cmp_nlt_f32_e32 vcc, s8, v38
	v_mul_f32_e32 v38, 0x3fb8aa3b, v37
	v_fma_f32 v39, v37, s10, -v38
	v_rndne_f32_e32 v40, v38
	v_fmac_f32_e32 v39, 0x32a5705f, v37
	v_sub_f32_e32 v38, v38, v40
	v_add_f32_e32 v38, v38, v39
	v_mfma_f32_32x32x2_f32 v[18:33], v124, v156, v[18:33]
	v_cvt_i32_f32_e32 v39, v40
	v_mul_f32_e32 v40, 0x3d92220c, v34
	v_fma_f32 v40, -v34, v40, s11
	v_mul_f32_e32 v40, v34, v40
	v_mul_f32_e32 v41, 0x3fb8aa3b, v40
	v_exp_f32_e32 v38, v38
	v_fma_f32 v43, v40, s10, -v41
	v_rndne_f32_e32 v44, v41
	v_fmac_f32_e32 v43, 0x32a5705f, v40
	v_sub_f32_e32 v41, v41, v44
	v_add_f32_e32 v41, v41, v43
	v_exp_f32_e32 v41, v41
	v_cvt_i32_f32_e32 v43, v44
	v_ldexp_f32 v38, v38, v39
	v_mul_f32_e32 v39, 0x3d92220c, v35
	v_mfma_f32_32x32x2_f32 v[18:33], v125, v157, v[18:33]
	v_fma_f32 v39, -v35, v39, s11
	v_cndmask_b32_e32 v36, v52, v36, vcc
	v_cmp_ngt_f32_e32 vcc, s9, v37
	v_mul_f32_e32 v39, v35, v39
	v_add3_u32 v50, s2, 32, v64
	v_cndmask_b32_e32 v44, 0, v38, vcc
	v_ldexp_f32 v38, v41, v43
	v_mul_f32_e32 v41, 0x3fb8aa3b, v39
	v_fma_f32 v43, v39, s10, -v41
	v_rndne_f32_e32 v45, v41
	v_fmac_f32_e32 v43, 0x32a5705f, v39
	v_sub_f32_e32 v41, v41, v45
	v_add_f32_e32 v41, v41, v43
	v_exp_f32_e32 v41, v41
	v_cvt_i32_f32_e32 v43, v45
	v_mfma_f32_32x32x2_f32 v[18:33], v114, v150, v[18:33]
	v_cmp_ngt_f32_e32 vcc, s9, v40
	v_add_u32_e32 v64, s16, v42
	v_lshlrev_b32_e32 v42, 2, v64
	v_cndmask_b32_e32 v38, 0, v38, vcc
	v_cmp_nlt_f32_e32 vcc, s8, v40
	v_ldexp_f32 v40, v41, v43
	s_nop 0
	v_cndmask_b32_e32 v38, v52, v38, vcc
	v_cmp_ngt_f32_e32 vcc, s9, v39
	s_nop 1
	v_cndmask_b32_e32 v40, 0, v40, vcc
	v_cmp_nlt_f32_e32 vcc, s8, v39
	v_mfma_f32_32x32x2_f32 v[18:33], v115, v151, v[18:33]
	s_nop 0
	v_cndmask_b32_e32 v39, v52, v40, vcc
	v_add_f32_e64 v38, v38, 1.0
	v_add_f32_e64 v39, v39, 1.0
	v_cmp_nlt_f32_e32 vcc, s8, v37
	v_div_scale_f32 v40, s[4:5], v39, v39, 1.0
	v_rcp_f32_e32 v41, v40
	v_cndmask_b32_e32 v37, v52, v44, vcc
	v_pk_add_f32 v[36:37], v[36:37], 1.0 op_sel_hi:[1,0]
	v_fma_f32 v43, -v40, v41, 1.0
	v_fmac_f32_e32 v41, v43, v41
	v_div_scale_f32 v43, vcc, 1.0, v39, 1.0
	v_mul_f32_e32 v44, v43, v41
	v_fma_f32 v45, -v40, v44, v43
	v_mfma_f32_32x32x2_f32 v[18:33], v116, v152, v[18:33]
	v_fmac_f32_e32 v44, v45, v41
	v_fma_f32 v40, -v40, v44, v43
	v_div_scale_f32 v43, s[4:5], v38, v38, 1.0
	v_rcp_f32_e32 v45, v43
	v_div_fmas_f32 v40, v40, v41, v44
	v_div_fixup_f32 v39, v40, v39, 1.0
	v_fma_f32 v40, -v43, v45, 1.0
	v_fmac_f32_e32 v45, v40, v45
	v_div_scale_f32 v40, vcc, 1.0, v38, 1.0
	v_mul_f32_e32 v41, v40, v45
	v_fma_f32 v44, -v43, v41, v40
	v_fmac_f32_e32 v41, v44, v45
	v_mfma_f32_32x32x2_f32 v[18:33], v117, v153, v[18:33]
	v_fma_f32 v40, -v43, v41, v40
	v_div_scale_f32 v43, s[4:5], v37, v37, 1.0
	v_rcp_f32_e32 v44, v43
	v_div_fmas_f32 v40, v40, v45, v41
	v_div_fixup_f32 v38, v40, v38, 1.0
	v_fma_f32 v40, -v43, v44, 1.0
	v_fmac_f32_e32 v44, v40, v44
	v_div_scale_f32 v40, vcc, 1.0, v37, 1.0
	v_mul_f32_e32 v41, v40, v44
	v_fma_f32 v45, -v43, v41, v40
	v_fmac_f32_e32 v41, v45, v44
	v_fma_f32 v40, -v43, v41, v40
	v_div_scale_f32 v43, s[4:5], v36, v36, 1.0
	v_rcp_f32_e32 v45, v43
	v_mfma_f32_32x32x2_f32 v[18:33], v102, v146, v[18:33]
	v_div_fmas_f32 v40, v40, v44, v41
	v_div_fixup_f32 v41, v40, v37, 1.0
	v_fma_f32 v37, -v43, v45, 1.0
	v_fmac_f32_e32 v45, v37, v45
	v_div_scale_f32 v37, vcc, 1.0, v36, 1.0
	v_mul_f32_e32 v40, v37, v45
	v_fma_f32 v44, -v43, v40, v37
	v_fmac_f32_e32 v40, v44, v45
	v_fma_f32 v37, -v43, v40, v37
	v_div_fmas_f32 v37, v37, v45, v40
	v_div_fixup_f32 v40, v37, v36, 1.0
	v_mul_f32_e64 v36, v34, v38
	v_mul_f32_e64 v37, v35, v39
	v_pk_mul_f32 v[34:35], v[0:1], v[40:41]
	v_lshlrev_b32_e32 v0, 2, v50
	buffer_store_dwordx4 v[34:37], v0, s[12:15], 0 offen
	s_waitcnt lgkmcnt(0)
	v_pk_add_f32 v[0:1], v[46:47], v[56:57]
	v_mfma_f32_32x32x2_f32 v[18:33], v103, v147, v[18:33]
	s_waitcnt vmcnt(1)
	v_add_f32_e64 v0, v0, v60
	v_add_f32_e64 v1, v1, v61
	v_add_u32_e32 v50, s7, v50
	v_mul_f32_e32 v34, 0x3d92220c, v0
	v_fma_f32 v34, -v0, v34, s11
	v_mul_f32_e32 v36, v0, v34
	v_mul_f32_e32 v34, 0x3fb8aa3b, v36
	v_fma_f32 v35, v36, s10, -v34
	v_rndne_f32_e32 v37, v34
	v_fmac_f32_e32 v35, 0x32a5705f, v36
	v_sub_f32_e32 v34, v34, v37
	v_add_f32_e32 v34, v34, v35
	v_exp_f32_e32 v38, v34
	v_cvt_i32_f32_e32 v37, v37
	v_pk_add_f32 v[34:35], v[48:49], v[58:59]
	v_cmp_ngt_f32_e32 vcc, s9, v36
	v_mfma_f32_32x32x2_f32 v[18:33], v104, v148, v[18:33]
	v_ldexp_f32 v37, v38, v37
	v_mul_f32_e32 v38, 0x3d92220c, v1
	v_fma_f32 v38, -v1, v38, s11
	v_mul_f32_e32 v48, v1, v38
	v_mul_f32_e32 v38, 0x3fb8aa3b, v48
	v_fma_f32 v39, v48, s10, -v38
	v_rndne_f32_e32 v40, v38
	v_fmac_f32_e32 v39, 0x32a5705f, v48
	v_sub_f32_e32 v38, v38, v40
	v_add_f32_e32 v38, v38, v39
	v_exp_f32_e32 v38, v38
	v_cvt_i32_f32_e32 v39, v40
	v_pk_add_f32 v[34:35], v[34:35], v[62:63]
	v_cndmask_b32_e32 v37, 0, v37, vcc
	v_cmp_nlt_f32_e32 vcc, s8, v36
	v_mfma_f32_32x32x2_f32 v[18:33], v105, v149, v[18:33]
	s_nop 0
	v_cndmask_b32_e32 v36, v52, v37, vcc
	v_ldexp_f32 v37, v38, v39
	v_mul_f32_e32 v38, 0x3d92220c, v34
	v_fma_f32 v38, -v34, v38, s11
	v_mul_f32_e32 v38, v34, v38
	v_mul_f32_e32 v39, 0x3fb8aa3b, v38
	v_fma_f32 v40, v38, s10, -v39
	v_rndne_f32_e32 v41, v39
	v_fmac_f32_e32 v40, 0x32a5705f, v38
	v_sub_f32_e32 v39, v39, v41
	v_add_f32_e32 v39, v39, v40
	v_exp_f32_e32 v39, v39
	v_cvt_i32_f32_e32 v40, v41
	v_cmp_ngt_f32_e32 vcc, s9, v48
	v_mfma_f32_32x32x2_f32 v[18:33], v98, v142, v[18:33]
	v_ldexp_f32 v39, v39, v40
	v_mul_f32_e32 v40, 0x3d92220c, v35
	v_fma_f32 v40, -v35, v40, s11
	v_mul_f32_e32 v47, v35, v40
	v_mul_f32_e32 v40, 0x3fb8aa3b, v47
	v_fma_f32 v41, v47, s10, -v40
	v_rndne_f32_e32 v43, v40
	v_fmac_f32_e32 v41, 0x32a5705f, v47
	v_sub_f32_e32 v40, v40, v43
	v_add_f32_e32 v40, v40, v41
	v_exp_f32_e32 v40, v40
	v_cvt_i32_f32_e32 v41, v43
	v_cndmask_b32_e32 v37, 0, v37, vcc
	v_cmp_ngt_f32_e32 vcc, s9, v38
	buffer_load_dwordx4 v[42:45], v42, s[24:27], 0 offen
	v_mfma_f32_32x32x2_f32 v[18:33], v99, v143, v[18:33]
	v_cndmask_b32_e32 v39, 0, v39, vcc
	v_cmp_nlt_f32_e32 vcc, s8, v38
	v_ldexp_f32 v38, v40, v41
	s_nop 0
	v_cndmask_b32_e32 v46, v52, v39, vcc
	v_cmp_ngt_f32_e32 vcc, s9, v47
	s_nop 1
	v_cndmask_b32_e32 v49, 0, v38, vcc
	v_lshlrev_b32_e32 v38, 2, v51
	buffer_load_dwordx4 v[38:41], v38, s[20:23], 0 offen
	v_cmp_nlt_f32_e32 vcc, s8, v47
	s_nop 1
	v_cndmask_b32_e32 v47, v52, v49, vcc
	v_add_f32_e64 v46, v46, 1.0
	v_add_f32_e64 v47, v47, 1.0
	v_mfma_f32_32x32x2_f32 v[18:33], v100, v144, v[18:33]
	v_div_scale_f32 v49, s[4:5], v47, v47, 1.0
	v_rcp_f32_e32 v56, v49
	v_cmp_nlt_f32_e32 vcc, s8, v48
	v_fma_f32 v48, -v49, v56, 1.0
	s_nop 0
	v_cndmask_b32_e32 v37, v52, v37, vcc
	v_fmac_f32_e32 v56, v48, v56
	v_div_scale_f32 v48, vcc, 1.0, v47, 1.0
	v_mul_f32_e32 v57, v48, v56
	v_fma_f32 v58, -v49, v57, v48
	v_fmac_f32_e32 v57, v58, v56
	v_fma_f32 v48, -v49, v57, v48
	v_div_scale_f32 v49, s[4:5], v46, v46, 1.0
	v_rcp_f32_e32 v58, v49
	v_div_fmas_f32 v48, v48, v56, v57
	v_div_fixup_f32 v47, v48, v47, 1.0
	v_pk_add_f32 v[36:37], v[36:37], 1.0 op_sel_hi:[1,0]
	v_fma_f32 v48, -v49, v58, 1.0
	v_fmac_f32_e32 v58, v48, v58
	v_div_scale_f32 v48, vcc, 1.0, v46, 1.0
	v_mul_f32_e32 v56, v48, v58
	v_fma_f32 v57, -v49, v56, v48
	v_fmac_f32_e32 v56, v57, v58
	v_fma_f32 v48, -v49, v56, v48
	v_div_scale_f32 v49, s[4:5], v37, v37, 1.0
	v_mfma_f32_32x32x2_f32 v[18:33], v101, v145, v[18:33]
	v_rcp_f32_e32 v57, v49
	v_div_fmas_f32 v48, v48, v58, v56
	v_div_fixup_f32 v46, v48, v46, 1.0
	v_fma_f32 v48, -v49, v57, 1.0
	v_fmac_f32_e32 v57, v48, v57
	v_div_scale_f32 v48, vcc, 1.0, v37, 1.0
	v_mul_f32_e32 v56, v48, v57
	v_fma_f32 v58, -v49, v56, v48
	v_fmac_f32_e32 v56, v58, v57
	v_div_scale_f32 v58, s[4:5], v36, v36, 1.0
	v_rcp_f32_e32 v59, v58
	v_fma_f32 v48, -v49, v56, v48
	v_div_fmas_f32 v48, v48, v57, v56
	v_div_fixup_f32 v49, v48, v37, 1.0
	v_fma_f32 v37, -v58, v59, 1.0
	v_fmac_f32_e32 v59, v37, v59
	v_div_scale_f32 v37, vcc, 1.0, v36, 1.0
	v_mul_f32_e32 v48, v37, v59
	v_mfma_f32_32x32x2_f32 v[18:33], v94, v138, v[18:33]
	v_fma_f32 v56, -v58, v48, v37
	v_fmac_f32_e32 v48, v56, v59
	v_fma_f32 v37, -v58, v48, v37
	v_div_fmas_f32 v37, v37, v59, v48
	v_div_fixup_f32 v48, v37, v36, 1.0
	v_mul_f32_e64 v36, v34, v46
	v_mul_f32_e64 v37, v35, v47
	;; [unrolled: 1-line block ×4, first 2 shown]
	ds_read_b128 v[46:49], v53 offset:256
	ds_read_b128 v[56:59], v53 offset:384
	v_lshlrev_b32_e32 v0, 2, v50
	buffer_store_dwordx4 v[34:37], v0, s[12:15], 0 offen
	s_nop 1
	v_add_u32_e32 v36, s6, v51
	v_lshlrev_b32_e32 v0, 2, v36
	v_add_u32_e32 v34, s16, v64
	buffer_load_dwordx4 v[60:63], v0, s[20:23], 0 offen
	v_lshlrev_b32_e32 v35, 2, v34
	s_waitcnt vmcnt(2) lgkmcnt(1)
	v_pk_add_f32 v[0:1], v[46:47], v[38:39]
	buffer_load_dwordx4 v[150:153], v35, s[24:27], 0 offen
	v_pk_add_f32 v[0:1], v[0:1], v[42:43]
	v_mfma_f32_32x32x2_f32 v[18:33], v95, v139, v[18:33]
	v_mul_f32_e32 v35, 0x3d92220c, v0
	v_fma_f32 v35, -v0, v35, s11
	v_mul_f32_e32 v35, v0, v35
	v_mul_f32_e32 v37, 0x3fb8aa3b, v35
	v_fma_f32 v38, v35, s10, -v37
	v_rndne_f32_e32 v39, v37
	v_fmac_f32_e32 v38, 0x32a5705f, v35
	v_sub_f32_e32 v37, v37, v39
	v_add_f32_e32 v37, v37, v38
	v_exp_f32_e32 v37, v37
	v_cvt_i32_f32_e32 v42, v39
	v_cmp_ngt_f32_e32 vcc, s9, v35
	v_pk_add_f32 v[38:39], v[48:49], v[40:41]
	v_add_u32_e32 v46, s7, v50
	v_ldexp_f32 v37, v37, v42
	v_cndmask_b32_e32 v37, 0, v37, vcc
	v_cmp_nlt_f32_e32 vcc, s8, v35
	v_mul_f32_e32 v35, 0x3d92220c, v1
	v_fma_f32 v35, -v1, v35, s11
	v_mul_f32_e32 v35, v1, v35
	v_cndmask_b32_e32 v40, v52, v37, vcc
	v_mul_f32_e32 v37, 0x3fb8aa3b, v35
	v_fma_f32 v41, v35, s10, -v37
	v_rndne_f32_e32 v42, v37
	v_pk_add_f32 v[38:39], v[38:39], v[44:45]
	v_fmac_f32_e32 v41, 0x32a5705f, v35
	v_sub_f32_e32 v37, v37, v42
	v_add_f32_e32 v37, v37, v41
	v_cvt_i32_f32_e32 v41, v42
	v_mul_f32_e32 v42, 0x3d92220c, v38
	v_fma_f32 v42, -v38, v42, s11
	v_mfma_f32_32x32x2_f32 v[18:33], v96, v140, v[18:33]
	v_mul_f32_e32 v42, v38, v42
	v_mul_f32_e32 v43, 0x3fb8aa3b, v42
	v_fma_f32 v44, v42, s10, -v43
	v_rndne_f32_e32 v45, v43
	v_fmac_f32_e32 v44, 0x32a5705f, v42
	v_sub_f32_e32 v43, v43, v45
	v_add_f32_e32 v43, v43, v44
	v_exp_f32_e32 v37, v37
	v_exp_f32_e32 v43, v43
	v_cvt_i32_f32_e32 v44, v45
	v_cmp_ngt_f32_e32 vcc, s9, v35
	v_ldexp_f32 v37, v37, v41
	v_ldexp_f32 v41, v43, v44
	v_mul_f32_e32 v43, 0x3d92220c, v39
	v_fma_f32 v43, -v39, v43, s11
	v_mul_f32_e32 v43, v39, v43
	v_mul_f32_e32 v44, 0x3fb8aa3b, v43
	v_fma_f32 v45, v43, s10, -v44
	v_rndne_f32_e32 v47, v44
	v_fmac_f32_e32 v45, 0x32a5705f, v43
	v_sub_f32_e32 v44, v44, v47
	v_add_f32_e32 v44, v44, v45
	v_mfma_f32_32x32x2_f32 v[18:33], v97, v141, v[18:33]
	v_exp_f32_e32 v44, v44
	v_cvt_i32_f32_e32 v45, v47
	v_cndmask_b32_e32 v37, 0, v37, vcc
	v_cmp_ngt_f32_e32 vcc, s9, v42
	s_nop 1
	v_cndmask_b32_e32 v41, 0, v41, vcc
	v_cmp_nlt_f32_e32 vcc, s8, v42
	s_nop 1
	v_cndmask_b32_e32 v42, v52, v41, vcc
	v_ldexp_f32 v41, v44, v45
	v_cmp_ngt_f32_e32 vcc, s9, v43
	s_nop 1
	v_cndmask_b32_e32 v41, 0, v41, vcc
	v_cmp_nlt_f32_e32 vcc, s8, v43
	v_mfma_f32_32x32x2_f32 v[18:33], v82, v134, v[18:33]
	s_nop 0
	v_cndmask_b32_e32 v43, v52, v41, vcc
	v_add_f32_e64 v42, v42, 1.0
	v_add_f32_e64 v43, v43, 1.0
	v_cmp_nlt_f32_e32 vcc, s8, v35
	v_div_scale_f32 v44, s[4:5], v43, v43, 1.0
	v_rcp_f32_e32 v45, v44
	v_cndmask_b32_e32 v41, v52, v37, vcc
	v_pk_add_f32 v[40:41], v[40:41], 1.0 op_sel_hi:[1,0]
	v_fma_f32 v35, -v44, v45, 1.0
	v_fmac_f32_e32 v45, v35, v45
	v_div_scale_f32 v35, vcc, 1.0, v43, 1.0
	v_mul_f32_e32 v37, v35, v45
	v_fma_f32 v47, -v44, v37, v35
	v_fmac_f32_e32 v37, v47, v45
	v_fma_f32 v35, -v44, v37, v35
	v_div_scale_f32 v44, s[4:5], v42, v42, 1.0
	v_rcp_f32_e32 v47, v44
	v_div_fmas_f32 v35, v35, v45, v37
	v_div_fixup_f32 v43, v35, v43, 1.0
	v_mfma_f32_32x32x2_f32 v[18:33], v83, v135, v[18:33]
	v_fma_f32 v35, -v44, v47, 1.0
	v_fmac_f32_e32 v47, v35, v47
	v_div_scale_f32 v35, vcc, 1.0, v42, 1.0
	v_mul_f32_e32 v37, v35, v47
	v_fma_f32 v45, -v44, v37, v35
	v_fmac_f32_e32 v37, v45, v47
	v_fma_f32 v35, -v44, v37, v35
	v_div_scale_f32 v44, s[4:5], v41, v41, 1.0
	v_rcp_f32_e32 v45, v44
	v_div_fmas_f32 v35, v35, v47, v37
	v_div_fixup_f32 v42, v35, v42, 1.0
	v_fma_f32 v35, -v44, v45, 1.0
	v_fmac_f32_e32 v45, v35, v45
	v_div_scale_f32 v35, vcc, 1.0, v41, 1.0
	v_mul_f32_e32 v37, v35, v45
	v_fma_f32 v47, -v44, v37, v35
	v_fmac_f32_e32 v37, v47, v45
	v_fma_f32 v35, -v44, v37, v35
	v_div_scale_f32 v44, s[4:5], v40, v40, 1.0
	v_rcp_f32_e32 v47, v44
	v_div_fmas_f32 v35, v35, v45, v37
	v_div_fixup_f32 v45, v35, v41, 1.0
	v_mfma_f32_32x32x2_f32 v[18:33], v84, v136, v[18:33]
	v_fma_f32 v35, -v44, v47, 1.0
	v_fmac_f32_e32 v47, v35, v47
	v_div_scale_f32 v35, vcc, 1.0, v40, 1.0
	v_mul_f32_e32 v37, v35, v47
	v_fma_f32 v41, -v44, v37, v35
	v_fmac_f32_e32 v37, v41, v47
	v_fma_f32 v35, -v44, v37, v35
	v_div_fmas_f32 v35, v35, v47, v37
	v_div_fixup_f32 v44, v35, v40, 1.0
	v_mul_f32_e64 v40, v38, v42
	v_mul_f32_e64 v41, v39, v43
	v_mul_f32_e64 v38, v0, v44
	v_mul_f32_e64 v39, v1, v45
	v_lshlrev_b32_e32 v0, 2, v46
	buffer_store_dwordx4 v[38:41], v0, s[12:15], 0 offen
	s_waitcnt vmcnt(2) lgkmcnt(0)
	v_pk_add_f32 v[0:1], v[56:57], v[60:61]
	v_mfma_f32_32x32x2_f32 v[18:33], v85, v137, v[18:33]
	s_waitcnt vmcnt(1)
	v_add_f32_e64 v38, v0, v150
	v_add_f32_e64 v39, v1, v151
	;; [unrolled: 1-line block ×4, first 2 shown]
	v_mul_f32_e32 v0, 0x3d92220c, v38
	v_fma_f32 v0, -v38, v0, s11
	v_mul_f32_e32 v1, v38, v0
	v_mul_f32_e32 v0, 0x3fb8aa3b, v1
	v_fma_f32 v35, v1, s10, -v0
	v_rndne_f32_e32 v37, v0
	v_fmac_f32_e32 v35, 0x32a5705f, v1
	v_sub_f32_e32 v0, v0, v37
	v_add_f32_e32 v0, v0, v35
	v_exp_f32_e32 v35, v0
	v_cvt_i32_f32_e32 v37, v37
	v_cmp_ngt_f32_e32 vcc, s9, v1
	v_pk_add_f32 v[40:41], v[40:41], v[152:153]
	v_add_u32_e32 v0, s7, v46
	v_ldexp_f32 v35, v35, v37
	v_cndmask_b32_e32 v35, 0, v35, vcc
	v_cmp_nlt_f32_e32 vcc, s8, v1
	v_mul_f32_e32 v1, 0x3d92220c, v39
	v_fma_f32 v1, -v39, v1, s11
	v_mul_f32_e32 v1, v39, v1
	v_cndmask_b32_e32 v42, v52, v35, vcc
	v_mul_f32_e32 v35, 0x3fb8aa3b, v1
	v_fma_f32 v37, v1, s10, -v35
	v_rndne_f32_e32 v43, v35
	v_fmac_f32_e32 v37, 0x32a5705f, v1
	v_sub_f32_e32 v35, v35, v43
	v_add_f32_e32 v35, v35, v37
	v_cvt_i32_f32_e32 v37, v43
	v_mul_f32_e32 v43, 0x3d92220c, v40
	v_fma_f32 v43, -v40, v43, s11
	v_mul_f32_e32 v43, v40, v43
	v_mul_f32_e32 v44, 0x3fb8aa3b, v43
	v_fma_f32 v45, v43, s10, -v44
	v_rndne_f32_e32 v46, v44
	v_fmac_f32_e32 v45, 0x32a5705f, v43
	v_sub_f32_e32 v44, v44, v46
	v_add_f32_e32 v44, v44, v45
	v_exp_f32_e32 v35, v35
	v_exp_f32_e32 v44, v44
	v_cvt_i32_f32_e32 v45, v46
	v_mfma_f32_32x32x2_f32 v[18:33], v74, v130, v[18:33]
	v_ldexp_f32 v35, v35, v37
	v_cmp_ngt_f32_e32 vcc, s9, v1
	v_ldexp_f32 v37, v44, v45
	v_mul_f32_e32 v44, 0x3d92220c, v41
	v_fma_f32 v44, -v41, v44, s11
	v_mul_f32_e32 v45, v41, v44
	v_mul_f32_e32 v44, 0x3fb8aa3b, v45
	v_fma_f32 v46, v45, s10, -v44
	v_rndne_f32_e32 v47, v44
	v_fmac_f32_e32 v46, 0x32a5705f, v45
	v_sub_f32_e32 v44, v44, v47
	v_add_f32_e32 v44, v44, v46
	v_exp_f32_e32 v46, v44
	v_cvt_i32_f32_e32 v47, v47
	v_cndmask_b32_e32 v35, 0, v35, vcc
	v_cmp_ngt_f32_e32 vcc, s9, v43
	v_mfma_f32_32x32x2_f32 v[18:33], v75, v131, v[18:33]
	s_nop 0
	v_cndmask_b32_e32 v37, 0, v37, vcc
	v_cmp_nlt_f32_e32 vcc, s8, v43
	s_nop 1
	v_cndmask_b32_e32 v44, v52, v37, vcc
	v_ldexp_f32 v37, v46, v47
	v_cmp_ngt_f32_e32 vcc, s9, v45
	s_nop 1
	v_cndmask_b32_e32 v37, 0, v37, vcc
	v_cmp_nlt_f32_e32 vcc, s8, v45
	s_nop 1
	v_cndmask_b32_e32 v45, v52, v37, vcc
	v_add_f32_e64 v44, v44, 1.0
	v_add_f32_e64 v45, v45, 1.0
	v_mfma_f32_32x32x2_f32 v[2:17], v126, v118, v[2:17]
	v_div_scale_f32 v37, s[4:5], v45, v45, 1.0
	v_rcp_f32_e32 v46, v37
	v_cmp_nlt_f32_e32 vcc, s8, v1
	v_fma_f32 v1, -v37, v46, 1.0
	s_nop 0
	v_cndmask_b32_e32 v43, v52, v35, vcc
	v_fmac_f32_e32 v46, v1, v46
	v_div_scale_f32 v1, vcc, 1.0, v45, 1.0
	v_mul_f32_e32 v35, v1, v46
	v_fma_f32 v47, -v37, v35, v1
	v_fmac_f32_e32 v35, v47, v46
	v_fma_f32 v1, -v37, v35, v1
	v_div_scale_f32 v37, s[4:5], v44, v44, 1.0
	v_rcp_f32_e32 v47, v37
	v_mfma_f32_32x32x2_f32 v[18:33], v76, v132, v[18:33]
	v_div_fmas_f32 v1, v1, v46, v35
	v_div_fixup_f32 v45, v1, v45, 1.0
	v_fma_f32 v1, -v37, v47, 1.0
	v_fmac_f32_e32 v47, v1, v47
	v_div_scale_f32 v1, vcc, 1.0, v44, 1.0
	v_mul_f32_e32 v35, v1, v47
	v_fma_f32 v46, -v37, v35, v1
	v_add_f32_e64 v42, v42, 1.0
	v_add_f32_e64 v43, v43, 1.0
	v_fmac_f32_e32 v35, v46, v47
	v_fma_f32 v1, -v37, v35, v1
	v_div_scale_f32 v37, s[4:5], v43, v43, 1.0
	v_rcp_f32_e32 v46, v37
	v_div_fmas_f32 v1, v1, v47, v35
	v_mfma_f32_32x32x2_f32 v[2:17], v127, v119, v[2:17]
	v_div_fixup_f32 v44, v1, v44, 1.0
	v_fma_f32 v1, -v37, v46, 1.0
	v_fmac_f32_e32 v46, v1, v46
	v_div_scale_f32 v1, vcc, 1.0, v43, 1.0
	v_mul_f32_e32 v35, v1, v46
	v_fma_f32 v47, -v37, v35, v1
	v_fmac_f32_e32 v35, v47, v46
	v_fma_f32 v1, -v37, v35, v1
	v_div_scale_f32 v37, s[4:5], v42, v42, 1.0
	v_rcp_f32_e32 v47, v37
	v_div_fmas_f32 v1, v1, v46, v35
	v_div_fixup_f32 v43, v1, v43, 1.0
	v_pk_mul_f32 v[40:41], v[40:41], v[44:45]
	v_mfma_f32_32x32x2_f32 v[18:33], v77, v133, v[18:33]
	v_fma_f32 v1, -v37, v47, 1.0
	v_fmac_f32_e32 v47, v1, v47
	v_div_scale_f32 v1, vcc, 1.0, v42, 1.0
	v_mul_f32_e32 v35, v1, v47
	v_fma_f32 v46, -v37, v35, v1
	v_fmac_f32_e32 v35, v46, v47
	v_fma_f32 v1, -v37, v35, v1
	v_div_fmas_f32 v1, v1, v47, v35
	v_div_fixup_f32 v42, v1, v42, 1.0
	v_mul_f32_e64 v38, v38, v42
	v_mul_f32_e64 v39, v39, v43
	v_lshlrev_b32_e32 v1, 2, v0
	v_mad_u64_u32 v[36:37], s[4:5], s6, 29, v[36:37]
	buffer_store_dwordx4 v[38:41], v1, s[12:15], 0 offen
	v_mfma_f32_32x32x2_f32 v[2:17], v128, v120, v[2:17]
	v_lshlrev_b32_e32 v1, 2, v36
	v_mad_u64_u32 v[38:39], s[4:5], s16, 29, v[34:35]
	s_waitcnt lgkmcnt(0)
	; wave barrier
	ds_write2_b32 v190, v18, v19 offset1:32
	ds_write2_b32 v190, v20, v21 offset0:64 offset1:96
	ds_write2_b32 v194, v24, v25 offset0:64 offset1:96
	ds_write2_b32 v194, v22, v23 offset1:32
	ds_write2_b32 v54, v26, v27 offset1:32
	ds_write2_b32 v54, v28, v29 offset0:64 offset1:96
	ds_write2_b32 v55, v32, v33 offset0:64 offset1:96
	ds_write2_b32 v55, v30, v31 offset1:32
	s_waitcnt lgkmcnt(0)
	; wave barrier
	buffer_load_dwordx4 v[18:21], v1, s[20:23], 0 offen
	v_lshlrev_b32_e32 v1, 2, v38
	buffer_load_dwordx4 v[22:25], v1, s[24:27], 0 offen
	ds_read_b128 v[26:29], v53
	ds_read_b128 v[30:33], v53 offset:128
	v_add_u32_e32 v42, s6, v36
	v_lshlrev_b32_e32 v1, 2, v42
	v_add_u32_e32 v43, s16, v38
	buffer_load_dwordx4 v[34:37], v1, s[20:23], 0 offen
	v_mfma_f32_32x32x2_f32 v[2:17], v129, v121, v[2:17]
	v_lshlrev_b32_e32 v1, 2, v43
	buffer_load_dwordx4 v[38:41], v1, s[24:27], 0 offen
	s_waitcnt vmcnt(3) lgkmcnt(1)
	v_add_f32_e64 v18, v26, v18
	v_add_f32_e64 v19, v27, v19
	v_mfma_f32_32x32x2_f32 v[2:17], v122, v110, v[2:17]
	s_waitcnt vmcnt(2)
	v_add_f32_e64 v18, v18, v22
	v_add_f32_e64 v19, v19, v23
	;; [unrolled: 1-line block ×4, first 2 shown]
	v_mul_f32_e32 v1, 0x3d92220c, v18
	v_fma_f32 v1, -v18, v1, s11
	v_mul_f32_e32 v22, v18, v1
	v_mul_f32_e32 v1, 0x3fb8aa3b, v22
	v_fma_f32 v23, v22, s10, -v1
	v_rndne_f32_e32 v26, v1
	v_fmac_f32_e32 v23, 0x32a5705f, v22
	v_sub_f32_e32 v1, v1, v26
	v_add_f32_e32 v1, v1, v23
	v_exp_f32_e32 v23, v1
	v_cvt_i32_f32_e32 v26, v26
	v_mad_u64_u32 v[0:1], s[4:5], s7, 29, v[0:1]
	v_mfma_f32_32x32x2_f32 v[2:17], v123, v111, v[2:17]
	v_ldexp_f32 v1, v23, v26
	v_cmp_ngt_f32_e32 vcc, s9, v22
	v_add_f32_e64 v20, v20, v24
	v_add_f32_e64 v21, v21, v25
	v_add_u32_e32 v44, s7, v0
	v_cndmask_b32_e32 v1, 0, v1, vcc
	v_cmp_nlt_f32_e32 vcc, s8, v22
	s_nop 1
	v_cndmask_b32_e32 v22, v52, v1, vcc
	v_mul_f32_e32 v1, 0x3d92220c, v19
	v_fma_f32 v1, -v19, v1, s11
	v_mul_f32_e32 v1, v19, v1
	v_mul_f32_e32 v23, 0x3fb8aa3b, v1
	v_fma_f32 v24, v1, s10, -v23
	v_rndne_f32_e32 v25, v23
	v_mfma_f32_32x32x2_f32 v[2:17], v124, v112, v[2:17]
	v_fmac_f32_e32 v24, 0x32a5705f, v1
	v_sub_f32_e32 v23, v23, v25
	v_add_f32_e32 v23, v23, v24
	v_cvt_i32_f32_e32 v24, v25
	v_mul_f32_e32 v25, 0x3d92220c, v20
	v_fma_f32 v25, -v20, v25, s11
	v_mul_f32_e32 v25, v20, v25
	v_mul_f32_e32 v26, 0x3fb8aa3b, v25
	v_fma_f32 v27, v25, s10, -v26
	v_rndne_f32_e32 v28, v26
	v_fmac_f32_e32 v27, 0x32a5705f, v25
	v_sub_f32_e32 v26, v26, v28
	v_add_f32_e32 v26, v26, v27
	v_exp_f32_e32 v23, v23
	v_exp_f32_e32 v26, v26
	v_mfma_f32_32x32x2_f32 v[2:17], v125, v113, v[2:17]
	v_cvt_i32_f32_e32 v27, v28
	v_ldexp_f32 v23, v23, v24
	v_cmp_ngt_f32_e32 vcc, s9, v1
	v_ldexp_f32 v24, v26, v27
	v_mul_f32_e32 v26, 0x3d92220c, v21
	v_fma_f32 v26, -v21, v26, s11
	v_mul_f32_e32 v26, v21, v26
	v_mul_f32_e32 v27, 0x3fb8aa3b, v26
	v_fma_f32 v28, v26, s10, -v27
	v_rndne_f32_e32 v29, v27
	v_fmac_f32_e32 v28, 0x32a5705f, v26
	v_sub_f32_e32 v27, v27, v29
	v_add_f32_e32 v27, v27, v28
	v_exp_f32_e32 v27, v27
	v_mfma_f32_32x32x2_f32 v[2:17], v114, v106, v[2:17]
	v_cvt_i32_f32_e32 v28, v29
	v_cndmask_b32_e32 v23, 0, v23, vcc
	v_cmp_ngt_f32_e32 vcc, s9, v25
	s_nop 1
	v_cndmask_b32_e32 v24, 0, v24, vcc
	v_cmp_nlt_f32_e32 vcc, s8, v25
	v_ldexp_f32 v25, v27, v28
	s_nop 0
	v_cndmask_b32_e32 v24, v52, v24, vcc
	v_cmp_ngt_f32_e32 vcc, s9, v26
	s_nop 1
	v_cndmask_b32_e32 v25, 0, v25, vcc
	v_cmp_nlt_f32_e32 vcc, s8, v26
	v_mfma_f32_32x32x2_f32 v[2:17], v115, v107, v[2:17]
	s_nop 0
	v_cndmask_b32_e32 v25, v52, v25, vcc
	v_add_f32_e64 v24, v24, 1.0
	v_add_f32_e64 v25, v25, 1.0
	v_cmp_nlt_f32_e32 vcc, s8, v1
	v_div_scale_f32 v26, s[4:5], v25, v25, 1.0
	v_rcp_f32_e32 v27, v26
	v_cndmask_b32_e32 v23, v52, v23, vcc
	v_pk_add_f32 v[22:23], v[22:23], 1.0 op_sel_hi:[1,0]
	v_fma_f32 v1, -v26, v27, 1.0
	v_fmac_f32_e32 v27, v1, v27
	v_div_scale_f32 v1, vcc, 1.0, v25, 1.0
	v_mul_f32_e32 v28, v1, v27
	v_mfma_f32_32x32x2_f32 v[2:17], v116, v108, v[2:17]
	v_fma_f32 v29, -v26, v28, v1
	v_fmac_f32_e32 v28, v29, v27
	v_fma_f32 v1, -v26, v28, v1
	v_div_scale_f32 v26, s[4:5], v24, v24, 1.0
	v_rcp_f32_e32 v29, v26
	v_div_fmas_f32 v1, v1, v27, v28
	v_div_fixup_f32 v25, v1, v25, 1.0
	v_fma_f32 v1, -v26, v29, 1.0
	v_fmac_f32_e32 v29, v1, v29
	v_div_scale_f32 v1, vcc, 1.0, v24, 1.0
	v_mul_f32_e32 v27, v1, v29
	v_fma_f32 v28, -v26, v27, v1
	v_mfma_f32_32x32x2_f32 v[2:17], v117, v109, v[2:17]
	v_fmac_f32_e32 v27, v28, v29
	v_fma_f32 v1, -v26, v27, v1
	v_div_scale_f32 v26, s[4:5], v23, v23, 1.0
	v_rcp_f32_e32 v28, v26
	v_div_fmas_f32 v1, v1, v29, v27
	v_div_fixup_f32 v24, v1, v24, 1.0
	v_pk_mul_f32 v[20:21], v[20:21], v[24:25]
	v_fma_f32 v1, -v26, v28, 1.0
	v_fmac_f32_e32 v28, v1, v28
	v_div_scale_f32 v1, vcc, 1.0, v23, 1.0
	v_mul_f32_e32 v27, v1, v28
	v_fma_f32 v29, -v26, v27, v1
	v_fmac_f32_e32 v27, v29, v28
	v_mfma_f32_32x32x2_f32 v[2:17], v102, v90, v[2:17]
	v_fma_f32 v1, -v26, v27, v1
	v_div_scale_f32 v26, s[4:5], v22, v22, 1.0
	v_rcp_f32_e32 v29, v26
	v_div_fmas_f32 v1, v1, v28, v27
	v_div_fixup_f32 v23, v1, v23, 1.0
	v_fma_f32 v1, -v26, v29, 1.0
	v_fmac_f32_e32 v29, v1, v29
	v_div_scale_f32 v1, vcc, 1.0, v22, 1.0
	v_mul_f32_e32 v27, v1, v29
	v_fma_f32 v28, -v26, v27, v1
	v_fmac_f32_e32 v27, v28, v29
	v_fma_f32 v1, -v26, v27, v1
	v_mfma_f32_32x32x2_f32 v[2:17], v103, v91, v[2:17]
	v_div_fmas_f32 v1, v1, v29, v27
	v_div_fixup_f32 v22, v1, v22, 1.0
	v_mul_f32_e64 v18, v18, v22
	v_mul_f32_e64 v19, v19, v23
	v_lshlrev_b32_e32 v1, 2, v0
	buffer_store_dwordx4 v[18:21], v1, s[12:15], 0 offen
	s_waitcnt vmcnt(2) lgkmcnt(0)
	s_nop 0
	v_add_f32_e64 v18, v30, v34
	v_add_f32_e64 v19, v31, v35
	v_add_u32_e32 v34, s6, v42
	s_waitcnt vmcnt(1)
	v_add_f32_e64 v26, v18, v38
	v_add_f32_e64 v27, v19, v39
	v_add_u32_e32 v38, s16, v43
	v_mul_f32_e32 v1, 0x3d92220c, v26
	v_fma_f32 v1, -v26, v1, s11
	v_mul_f32_e32 v18, v26, v1
	v_mul_f32_e32 v1, 0x3fb8aa3b, v18
	v_fma_f32 v19, v18, s10, -v1
	v_rndne_f32_e32 v20, v1
	v_fmac_f32_e32 v19, 0x32a5705f, v18
	v_sub_f32_e32 v1, v1, v20
	v_add_f32_e32 v1, v1, v19
	v_exp_f32_e32 v19, v1
	v_cvt_i32_f32_e32 v20, v20
	v_mfma_f32_32x32x2_f32 v[2:17], v104, v92, v[2:17]
	v_add_f32_e64 v0, v32, v36
	v_add_f32_e64 v1, v33, v37
	v_cmp_ngt_f32_e32 vcc, s9, v18
	v_ldexp_f32 v19, v19, v20
	v_mul_f32_e32 v20, 0x3d92220c, v27
	v_fma_f32 v20, -v27, v20, s11
	v_mul_f32_e32 v29, v27, v20
	v_mul_f32_e32 v20, 0x3fb8aa3b, v29
	v_fma_f32 v21, v29, s10, -v20
	v_rndne_f32_e32 v22, v20
	v_fmac_f32_e32 v21, 0x32a5705f, v29
	v_sub_f32_e32 v20, v20, v22
	v_add_f32_e32 v20, v20, v21
	v_pk_add_f32 v[0:1], v[0:1], v[40:41]
	v_exp_f32_e32 v20, v20
	v_cvt_i32_f32_e32 v21, v22
	v_cndmask_b32_e32 v19, 0, v19, vcc
	v_cmp_nlt_f32_e32 vcc, s8, v18
	v_mfma_f32_32x32x2_f32 v[2:17], v105, v93, v[2:17]
	v_ldexp_f32 v18, v20, v21
	v_cndmask_b32_e32 v28, v52, v19, vcc
	v_mul_f32_e32 v19, 0x3d92220c, v0
	v_fma_f32 v19, -v0, v19, s11
	v_mul_f32_e32 v19, v0, v19
	v_mul_f32_e32 v20, 0x3fb8aa3b, v19
	v_fma_f32 v21, v19, s10, -v20
	v_rndne_f32_e32 v22, v20
	v_fmac_f32_e32 v21, 0x32a5705f, v19
	v_sub_f32_e32 v20, v20, v22
	v_add_f32_e32 v20, v20, v21
	v_exp_f32_e32 v20, v20
	v_cvt_i32_f32_e32 v21, v22
	v_cmp_ngt_f32_e32 vcc, s9, v29
	v_add_u32_e32 v42, s6, v34
	v_mfma_f32_32x32x2_f32 v[2:17], v98, v86, v[2:17]
	v_cndmask_b32_e32 v32, 0, v18, vcc
	v_ldexp_f32 v18, v20, v21
	v_mul_f32_e32 v20, 0x3d92220c, v1
	v_fma_f32 v20, -v1, v20, s11
	v_mul_f32_e32 v31, v1, v20
	v_mul_f32_e32 v20, 0x3fb8aa3b, v31
	v_fma_f32 v21, v31, s10, -v20
	v_rndne_f32_e32 v22, v20
	v_fmac_f32_e32 v21, 0x32a5705f, v31
	v_sub_f32_e32 v20, v20, v22
	v_add_f32_e32 v20, v20, v21
	v_exp_f32_e32 v20, v20
	v_cvt_i32_f32_e32 v21, v22
	v_cmp_ngt_f32_e32 vcc, s9, v19
	v_lshlrev_b32_e32 v22, 2, v38
	buffer_load_dwordx4 v[22:25], v22, s[24:27], 0 offen
	v_cndmask_b32_e32 v18, 0, v18, vcc
	v_cmp_nlt_f32_e32 vcc, s8, v19
	v_mfma_f32_32x32x2_f32 v[2:17], v99, v87, v[2:17]
	v_add_u32_e32 v43, s7, v44
	v_cndmask_b32_e32 v30, v52, v18, vcc
	v_ldexp_f32 v18, v20, v21
	v_cmp_ngt_f32_e32 vcc, s9, v31
	s_nop 1
	v_cndmask_b32_e32 v33, 0, v18, vcc
	v_lshlrev_b32_e32 v18, 2, v34
	buffer_load_dwordx4 v[18:21], v18, s[20:23], 0 offen
	v_cmp_nlt_f32_e32 vcc, s8, v31
	s_nop 1
	v_cndmask_b32_e32 v31, v52, v33, vcc
	v_add_f32_e64 v30, v30, 1.0
	v_add_f32_e64 v31, v31, 1.0
	v_cmp_nlt_f32_e32 vcc, s8, v29
	v_mfma_f32_32x32x2_f32 v[2:17], v100, v88, v[2:17]
	v_div_scale_f32 v33, s[4:5], v31, v31, 1.0
	v_rcp_f32_e32 v35, v33
	v_cndmask_b32_e32 v29, v52, v32, vcc
	v_pk_add_f32 v[28:29], v[28:29], 1.0 op_sel_hi:[1,0]
	v_fma_f32 v32, -v33, v35, 1.0
	v_fmac_f32_e32 v35, v32, v35
	v_div_scale_f32 v32, vcc, 1.0, v31, 1.0
	v_mul_f32_e32 v36, v32, v35
	v_fma_f32 v37, -v33, v36, v32
	v_fmac_f32_e32 v36, v37, v35
	v_fma_f32 v32, -v33, v36, v32
	v_div_scale_f32 v33, s[4:5], v30, v30, 1.0
	v_rcp_f32_e32 v37, v33
	v_div_fmas_f32 v32, v32, v35, v36
	v_div_fixup_f32 v31, v32, v31, 1.0
	v_mfma_f32_32x32x2_f32 v[2:17], v101, v89, v[2:17]
	v_fma_f32 v32, -v33, v37, 1.0
	v_fmac_f32_e32 v37, v32, v37
	v_div_scale_f32 v32, vcc, 1.0, v30, 1.0
	v_mul_f32_e32 v35, v32, v37
	v_fma_f32 v36, -v33, v35, v32
	v_fmac_f32_e32 v35, v36, v37
	v_fma_f32 v32, -v33, v35, v32
	v_div_scale_f32 v33, s[4:5], v29, v29, 1.0
	v_rcp_f32_e32 v36, v33
	v_div_fmas_f32 v32, v32, v37, v35
	v_div_fixup_f32 v30, v32, v30, 1.0
	v_fma_f32 v32, -v33, v36, 1.0
	v_fmac_f32_e32 v36, v32, v36
	v_div_scale_f32 v32, vcc, 1.0, v29, 1.0
	v_mul_f32_e32 v35, v32, v36
	v_fma_f32 v37, -v33, v35, v32
	v_fmac_f32_e32 v35, v37, v36
	v_div_scale_f32 v37, s[4:5], v28, v28, 1.0
	v_rcp_f32_e32 v39, v37
	v_mfma_f32_32x32x2_f32 v[2:17], v94, v78, v[2:17]
	v_fma_f32 v32, -v33, v35, v32
	v_div_fmas_f32 v32, v32, v36, v35
	v_div_fixup_f32 v33, v32, v29, 1.0
	v_fma_f32 v29, -v37, v39, 1.0
	v_fmac_f32_e32 v39, v29, v39
	v_div_scale_f32 v29, vcc, 1.0, v28, 1.0
	v_mul_f32_e32 v32, v29, v39
	v_fma_f32 v35, -v37, v32, v29
	v_fmac_f32_e32 v32, v35, v39
	v_fma_f32 v29, -v37, v32, v29
	v_div_fmas_f32 v29, v29, v39, v32
	v_div_fixup_f32 v32, v29, v28, 1.0
	v_mul_f32_e64 v28, v0, v30
	v_mul_f32_e64 v29, v1, v31
	v_pk_mul_f32 v[26:27], v[26:27], v[32:33]
	v_lshlrev_b32_e32 v0, 2, v44
	buffer_store_dwordx4 v[26:29], v0, s[12:15], 0 offen
	ds_read_b128 v[26:29], v53 offset:256
	ds_read_b128 v[30:33], v53 offset:384
	v_lshlrev_b32_e32 v0, 2, v42
	v_mfma_f32_32x32x2_f32 v[2:17], v95, v79, v[2:17]
	buffer_load_dwordx4 v[34:37], v0, s[20:23], 0 offen
	s_waitcnt vmcnt(2) lgkmcnt(1)
	v_add_f32_e64 v0, v26, v18
	v_add_f32_e64 v1, v27, v19
	v_add_u32_e32 v26, s16, v38
	v_lshlrev_b32_e32 v18, 2, v26
	buffer_load_dwordx4 v[38:41], v18, s[24:27], 0 offen
	v_add_f32_e64 v0, v0, v22
	v_add_f32_e64 v1, v1, v23
	v_mul_f32_e32 v18, 0x3d92220c, v0
	v_fma_f32 v18, -v0, v18, s11
	v_mul_f32_e32 v22, v0, v18
	v_mul_f32_e32 v18, 0x3fb8aa3b, v22
	v_fma_f32 v19, v22, s10, -v18
	v_rndne_f32_e32 v23, v18
	v_fmac_f32_e32 v19, 0x32a5705f, v22
	v_sub_f32_e32 v18, v18, v23
	v_add_f32_e32 v18, v18, v19
	v_exp_f32_e32 v27, v18
	v_cvt_i32_f32_e32 v23, v23
	v_pk_add_f32 v[18:19], v[28:29], v[20:21]
	v_mul_f32_e32 v21, 0x3d92220c, v1
	v_fma_f32 v21, -v1, v21, s11
	v_ldexp_f32 v20, v27, v23
	v_cmp_ngt_f32_e32 vcc, s9, v22
	v_mul_f32_e32 v21, v1, v21
	v_mfma_f32_32x32x2_f32 v[2:17], v96, v80, v[2:17]
	v_cndmask_b32_e32 v20, 0, v20, vcc
	v_cmp_nlt_f32_e32 vcc, s8, v22
	v_mul_f32_e32 v22, 0x3fb8aa3b, v21
	v_add_f32_e64 v18, v18, v24
	v_add_f32_e64 v19, v19, v25
	v_fma_f32 v23, v21, s10, -v22
	v_rndne_f32_e32 v24, v22
	v_fmac_f32_e32 v23, 0x32a5705f, v21
	v_sub_f32_e32 v22, v22, v24
	v_add_f32_e32 v22, v22, v23
	v_cvt_i32_f32_e32 v23, v24
	v_mul_f32_e32 v24, 0x3d92220c, v18
	v_fma_f32 v24, -v18, v24, s11
	v_mul_f32_e32 v24, v18, v24
	v_mul_f32_e32 v25, 0x3fb8aa3b, v24
	v_exp_f32_e32 v22, v22
	v_fma_f32 v27, v24, s10, -v25
	v_rndne_f32_e32 v28, v25
	v_fmac_f32_e32 v27, 0x32a5705f, v24
	v_sub_f32_e32 v25, v25, v28
	v_add_f32_e32 v25, v25, v27
	v_exp_f32_e32 v25, v25
	v_cvt_i32_f32_e32 v27, v28
	v_ldexp_f32 v22, v22, v23
	v_mul_f32_e32 v23, 0x3d92220c, v19
	v_fma_f32 v23, -v19, v23, s11
	v_cndmask_b32_e32 v20, v52, v20, vcc
	v_cmp_ngt_f32_e32 vcc, s9, v21
	v_mul_f32_e32 v23, v19, v23
	v_mfma_f32_32x32x2_f32 v[2:17], v97, v81, v[2:17]
	v_cndmask_b32_e32 v28, 0, v22, vcc
	v_ldexp_f32 v22, v25, v27
	v_mul_f32_e32 v25, 0x3fb8aa3b, v23
	v_fma_f32 v27, v23, s10, -v25
	v_rndne_f32_e32 v29, v25
	v_fmac_f32_e32 v27, 0x32a5705f, v23
	v_sub_f32_e32 v25, v25, v29
	v_add_f32_e32 v25, v25, v27
	v_exp_f32_e32 v25, v25
	v_cvt_i32_f32_e32 v27, v29
	v_cmp_ngt_f32_e32 vcc, s9, v24
	s_nop 1
	v_cndmask_b32_e32 v22, 0, v22, vcc
	v_cmp_nlt_f32_e32 vcc, s8, v24
	v_ldexp_f32 v24, v25, v27
	v_mfma_f32_32x32x2_f32 v[2:17], v82, v70, v[2:17]
	v_cndmask_b32_e32 v22, v52, v22, vcc
	v_cmp_ngt_f32_e32 vcc, s9, v23
	s_nop 1
	v_cndmask_b32_e32 v24, 0, v24, vcc
	v_cmp_nlt_f32_e32 vcc, s8, v23
	s_nop 1
	v_cndmask_b32_e32 v23, v52, v24, vcc
	v_add_f32_e64 v22, v22, 1.0
	v_add_f32_e64 v23, v23, 1.0
	v_cmp_nlt_f32_e32 vcc, s8, v21
	v_div_scale_f32 v24, s[4:5], v23, v23, 1.0
	v_rcp_f32_e32 v25, v24
	v_cndmask_b32_e32 v21, v52, v28, vcc
	v_pk_add_f32 v[20:21], v[20:21], 1.0 op_sel_hi:[1,0]
	v_mfma_f32_32x32x2_f32 v[2:17], v83, v71, v[2:17]
	v_fma_f32 v27, -v24, v25, 1.0
	v_fmac_f32_e32 v25, v27, v25
	v_div_scale_f32 v27, vcc, 1.0, v23, 1.0
	v_mul_f32_e32 v28, v27, v25
	v_fma_f32 v29, -v24, v28, v27
	v_fmac_f32_e32 v28, v29, v25
	v_fma_f32 v24, -v24, v28, v27
	v_div_scale_f32 v27, s[4:5], v22, v22, 1.0
	v_rcp_f32_e32 v29, v27
	v_div_fmas_f32 v24, v24, v25, v28
	v_div_fixup_f32 v23, v24, v23, 1.0
	v_fma_f32 v24, -v27, v29, 1.0
	v_fmac_f32_e32 v29, v24, v29
	v_div_scale_f32 v24, vcc, 1.0, v22, 1.0
	v_mul_f32_e32 v25, v24, v29
	v_fma_f32 v28, -v27, v25, v24
	v_fmac_f32_e32 v25, v28, v29
	v_fma_f32 v24, -v27, v25, v24
	v_div_scale_f32 v27, s[4:5], v21, v21, 1.0
	v_rcp_f32_e32 v28, v27
	v_div_fmas_f32 v24, v24, v29, v25
	v_div_fixup_f32 v22, v24, v22, 1.0
	v_mfma_f32_32x32x2_f32 v[2:17], v84, v72, v[2:17]
	v_fma_f32 v24, -v27, v28, 1.0
	v_fmac_f32_e32 v28, v24, v28
	v_div_scale_f32 v24, vcc, 1.0, v21, 1.0
	v_mul_f32_e32 v25, v24, v28
	v_fma_f32 v29, -v27, v25, v24
	v_fmac_f32_e32 v25, v29, v28
	v_fma_f32 v24, -v27, v25, v24
	v_div_scale_f32 v27, s[4:5], v20, v20, 1.0
	v_rcp_f32_e32 v29, v27
	v_div_fmas_f32 v24, v24, v28, v25
	v_div_fixup_f32 v25, v24, v21, 1.0
	v_fma_f32 v21, -v27, v29, 1.0
	v_fmac_f32_e32 v29, v21, v29
	v_div_scale_f32 v21, vcc, 1.0, v20, 1.0
	v_mul_f32_e32 v24, v21, v29
	v_fma_f32 v28, -v27, v24, v21
	v_fmac_f32_e32 v24, v28, v29
	v_fma_f32 v21, -v27, v24, v21
	v_div_fmas_f32 v21, v21, v29, v24
	v_div_fixup_f32 v24, v21, v20, 1.0
	v_pk_mul_f32 v[20:21], v[18:19], v[22:23]
	v_pk_mul_f32 v[18:19], v[0:1], v[24:25]
	v_lshlrev_b32_e32 v0, 2, v43
	buffer_store_dwordx4 v[18:21], v0, s[12:15], 0 offen
	s_waitcnt vmcnt(2) lgkmcnt(0)
	v_pk_add_f32 v[0:1], v[30:31], v[34:35]
	v_mfma_f32_32x32x2_f32 v[2:17], v85, v73, v[2:17]
	s_waitcnt vmcnt(1)
	v_add_f32_e64 v0, v0, v38
	v_add_f32_e64 v1, v1, v39
	v_add_u32_e32 v27, s7, v43
	v_mul_f32_e32 v18, 0x3d92220c, v0
	v_fma_f32 v18, -v0, v18, s11
	v_mul_f32_e32 v20, v0, v18
	v_mul_f32_e32 v18, 0x3fb8aa3b, v20
	v_fma_f32 v19, v20, s10, -v18
	v_rndne_f32_e32 v21, v18
	v_fmac_f32_e32 v19, 0x32a5705f, v20
	v_sub_f32_e32 v18, v18, v21
	v_add_f32_e32 v18, v18, v19
	v_exp_f32_e32 v22, v18
	v_cvt_i32_f32_e32 v21, v21
	v_cmp_ngt_f32_e32 vcc, s9, v20
	v_pk_add_f32 v[18:19], v[32:33], v[36:37]
	v_mfma_f32_32x32x2_f32 v[2:17], v74, v66, v[2:17]
	v_ldexp_f32 v21, v22, v21
	v_cndmask_b32_e32 v21, 0, v21, vcc
	v_cmp_nlt_f32_e32 vcc, s8, v20
	v_add_f32_e64 v18, v18, v40
	v_add_f32_e64 v19, v19, v41
	v_cndmask_b32_e32 v20, v52, v21, vcc
	v_mul_f32_e32 v21, 0x3d92220c, v1
	v_fma_f32 v21, -v1, v21, s11
	v_mul_f32_e32 v21, v1, v21
	v_mul_f32_e32 v22, 0x3fb8aa3b, v21
	v_fma_f32 v23, v21, s10, -v22
	v_rndne_f32_e32 v24, v22
	v_fmac_f32_e32 v23, 0x32a5705f, v21
	v_sub_f32_e32 v22, v22, v24
	v_add_f32_e32 v22, v22, v23
	v_cvt_i32_f32_e32 v23, v24
	v_mul_f32_e32 v24, 0x3d92220c, v18
	v_fma_f32 v24, -v18, v24, s11
	v_mul_f32_e32 v24, v18, v24
	v_mul_f32_e32 v25, 0x3fb8aa3b, v24
	v_exp_f32_e32 v22, v22
	v_fma_f32 v28, v24, s10, -v25
	v_rndne_f32_e32 v29, v25
	v_fmac_f32_e32 v28, 0x32a5705f, v24
	v_sub_f32_e32 v25, v25, v29
	v_add_f32_e32 v25, v25, v28
	v_exp_f32_e32 v25, v25
	v_cvt_i32_f32_e32 v28, v29
	v_ldexp_f32 v22, v22, v23
	v_mul_f32_e32 v23, 0x3d92220c, v19
	v_fma_f32 v23, -v19, v23, s11
	v_cmp_ngt_f32_e32 vcc, s9, v21
	v_mul_f32_e32 v23, v19, v23
	v_mfma_f32_32x32x2_f32 v[2:17], v75, v67, v[2:17]
	v_cndmask_b32_e32 v29, 0, v22, vcc
	v_ldexp_f32 v22, v25, v28
	v_mul_f32_e32 v25, 0x3fb8aa3b, v23
	v_fma_f32 v28, v23, s10, -v25
	v_rndne_f32_e32 v30, v25
	v_fmac_f32_e32 v28, 0x32a5705f, v23
	v_sub_f32_e32 v25, v25, v30
	v_add_f32_e32 v25, v25, v28
	v_exp_f32_e32 v25, v25
	v_cvt_i32_f32_e32 v28, v30
	v_cmp_ngt_f32_e32 vcc, s9, v24
	s_nop 1
	v_cndmask_b32_e32 v22, 0, v22, vcc
	v_cmp_nlt_f32_e32 vcc, s8, v24
	v_ldexp_f32 v24, v25, v28
	v_mfma_f32_32x32x2_f32 v[2:17], v76, v68, v[2:17]
	v_cndmask_b32_e32 v22, v52, v22, vcc
	v_cmp_ngt_f32_e32 vcc, s9, v23
	s_nop 1
	v_cndmask_b32_e32 v24, 0, v24, vcc
	v_cmp_nlt_f32_e32 vcc, s8, v23
	s_nop 1
	v_cndmask_b32_e32 v23, v52, v24, vcc
	v_add_f32_e64 v22, v22, 1.0
	v_add_f32_e64 v23, v23, 1.0
	v_cmp_nlt_f32_e32 vcc, s8, v21
	v_div_scale_f32 v24, s[4:5], v23, v23, 1.0
	v_rcp_f32_e32 v25, v24
	v_cndmask_b32_e32 v21, v52, v29, vcc
	v_pk_add_f32 v[20:21], v[20:21], 1.0 op_sel_hi:[1,0]
	v_mfma_f32_32x32x2_f32 v[2:17], v77, v69, v[2:17]
	v_fma_f32 v28, -v24, v25, 1.0
	v_fmac_f32_e32 v25, v28, v25
	v_div_scale_f32 v28, vcc, 1.0, v23, 1.0
	v_mul_f32_e32 v29, v28, v25
	v_fma_f32 v30, -v24, v29, v28
	v_fmac_f32_e32 v29, v30, v25
	v_fma_f32 v24, -v24, v29, v28
	v_div_scale_f32 v28, s[4:5], v22, v22, 1.0
	v_rcp_f32_e32 v30, v28
	v_div_fmas_f32 v24, v24, v25, v29
	v_div_fixup_f32 v23, v24, v23, 1.0
	v_fma_f32 v24, -v28, v30, 1.0
	v_fmac_f32_e32 v30, v24, v30
	v_div_scale_f32 v24, vcc, 1.0, v22, 1.0
	v_mul_f32_e32 v25, v24, v30
	v_fma_f32 v29, -v28, v25, v24
	v_fmac_f32_e32 v25, v29, v30
	v_fma_f32 v24, -v28, v25, v24
	v_div_scale_f32 v28, s[4:5], v21, v21, 1.0
	v_rcp_f32_e32 v29, v28
	v_div_fmas_f32 v24, v24, v30, v25
	v_div_fixup_f32 v22, v24, v22, 1.0
	;; [unrolled: 11-line block ×3, first 2 shown]
	v_fma_f32 v21, -v28, v30, 1.0
	v_fmac_f32_e32 v30, v21, v30
	v_div_scale_f32 v21, vcc, 1.0, v20, 1.0
	v_mul_f32_e32 v24, v21, v30
	v_fma_f32 v29, -v28, v24, v21
	v_fmac_f32_e32 v24, v29, v30
	v_fma_f32 v21, -v28, v24, v21
	v_div_fmas_f32 v21, v21, v30, v24
	v_div_fixup_f32 v24, v21, v20, 1.0
	v_pk_mul_f32 v[20:21], v[18:19], v[22:23]
	v_pk_mul_f32 v[18:19], v[0:1], v[24:25]
	v_lshlrev_b32_e32 v0, 2, v27
	buffer_store_dwordx4 v[18:21], v0, s[12:15], 0 offen
	s_waitcnt lgkmcnt(0)
	; wave barrier
	ds_write2_b32 v190, v2, v3 offset1:32
	ds_write2_b32 v190, v4, v5 offset0:64 offset1:96
	ds_write2_b32 v194, v8, v9 offset0:64 offset1:96
	ds_write2_b32 v194, v6, v7 offset1:32
	ds_write2_b32 v54, v10, v11 offset1:32
	ds_write2_b32 v54, v12, v13 offset0:64 offset1:96
	ds_write2_b32 v55, v16, v17 offset0:64 offset1:96
	ds_write2_b32 v55, v14, v15 offset1:32
	v_add_u32_e32 v18, s0, v42
	s_sub_i32 s0, s1, 32
	v_lshlrev_b32_e32 v0, 2, v18
	v_add_u32_e32 v20, s0, v26
	s_waitcnt lgkmcnt(0)
	; wave barrier
	buffer_load_dwordx4 v[0:3], v0, s[20:23], 0 offen
	v_lshlrev_b32_e32 v4, 2, v20
	buffer_load_dwordx4 v[4:7], v4, s[24:27], 0 offen
	ds_read_b128 v[8:11], v53
	ds_read_b128 v[12:15], v53 offset:128
	v_add_u32_e32 v24, s6, v18
	v_lshlrev_b32_e32 v16, 2, v24
	v_add_u32_e32 v25, s16, v20
	buffer_load_dwordx4 v[16:19], v16, s[20:23], 0 offen
	s_sub_i32 s0, s2, 32
	v_add_u32_e32 v26, s0, v27
	s_waitcnt vmcnt(2) lgkmcnt(1)
	v_pk_add_f32 v[0:1], v[8:9], v[0:1]
	v_lshlrev_b32_e32 v8, 2, v25
	buffer_load_dwordx4 v[20:23], v8, s[24:27], 0 offen
	s_waitcnt vmcnt(2)
	v_pk_add_f32 v[0:1], v[0:1], v[4:5]
	v_pk_add_f32 v[2:3], v[10:11], v[2:3]
	v_mul_f32_e32 v4, 0x3d92220c, v0
	v_fma_f32 v4, -v0, v4, s11
	v_mul_f32_e32 v4, v0, v4
	v_mul_f32_e32 v5, 0x3fb8aa3b, v4
	v_fma_f32 v8, v4, s10, -v5
	v_rndne_f32_e32 v9, v5
	v_fmac_f32_e32 v8, 0x32a5705f, v4
	v_sub_f32_e32 v5, v5, v9
	v_add_f32_e32 v5, v5, v8
	v_exp_f32_e32 v5, v5
	v_cvt_i32_f32_e32 v8, v9
	v_cmp_ngt_f32_e32 vcc, s9, v4
	v_pk_add_f32 v[2:3], v[2:3], v[6:7]
	v_ldexp_f32 v5, v5, v8
	v_cndmask_b32_e32 v5, 0, v5, vcc
	v_cmp_nlt_f32_e32 vcc, s8, v4
	s_nop 1
	v_cndmask_b32_e32 v4, v52, v5, vcc
	v_mul_f32_e32 v5, 0x3d92220c, v1
	v_fma_f32 v5, -v1, v5, s11
	v_mul_f32_e32 v5, v1, v5
	v_mul_f32_e32 v6, 0x3fb8aa3b, v5
	v_fma_f32 v7, v5, s10, -v6
	v_rndne_f32_e32 v8, v6
	v_fmac_f32_e32 v7, 0x32a5705f, v5
	v_sub_f32_e32 v6, v6, v8
	v_add_f32_e32 v6, v6, v7
	v_cvt_i32_f32_e32 v7, v8
	v_mul_f32_e32 v8, 0x3d92220c, v2
	v_fma_f32 v8, -v2, v8, s11
	v_mul_f32_e32 v8, v2, v8
	v_mul_f32_e32 v9, 0x3fb8aa3b, v8
	v_exp_f32_e32 v6, v6
	v_fma_f32 v10, v8, s10, -v9
	v_rndne_f32_e32 v11, v9
	v_fmac_f32_e32 v10, 0x32a5705f, v8
	v_sub_f32_e32 v9, v9, v11
	v_add_f32_e32 v9, v9, v10
	v_exp_f32_e32 v9, v9
	v_cvt_i32_f32_e32 v10, v11
	v_ldexp_f32 v6, v6, v7
	v_mul_f32_e32 v7, 0x3d92220c, v3
	v_fma_f32 v7, -v3, v7, s11
	v_cmp_ngt_f32_e32 vcc, s9, v5
	v_mul_f32_e32 v7, v3, v7
	s_nop 0
	v_cndmask_b32_e32 v11, 0, v6, vcc
	v_ldexp_f32 v6, v9, v10
	v_mul_f32_e32 v9, 0x3fb8aa3b, v7
	v_fma_f32 v10, v7, s10, -v9
	v_rndne_f32_e32 v27, v9
	v_fmac_f32_e32 v10, 0x32a5705f, v7
	v_sub_f32_e32 v9, v9, v27
	v_add_f32_e32 v9, v9, v10
	v_exp_f32_e32 v9, v9
	v_cvt_i32_f32_e32 v10, v27
	v_cmp_ngt_f32_e32 vcc, s9, v8
	s_nop 1
	v_cndmask_b32_e32 v6, 0, v6, vcc
	v_cmp_nlt_f32_e32 vcc, s8, v8
	v_ldexp_f32 v8, v9, v10
	s_nop 0
	v_cndmask_b32_e32 v6, v52, v6, vcc
	v_cmp_ngt_f32_e32 vcc, s9, v7
	s_nop 1
	v_cndmask_b32_e32 v8, 0, v8, vcc
	v_cmp_nlt_f32_e32 vcc, s8, v7
	s_nop 1
	v_cndmask_b32_e32 v7, v52, v8, vcc
	v_pk_add_f32 v[6:7], v[6:7], 1.0 op_sel_hi:[1,0]
	v_cmp_nlt_f32_e32 vcc, s8, v5
	v_div_scale_f32 v8, s[0:1], v7, v7, 1.0
	v_rcp_f32_e32 v9, v8
	v_cndmask_b32_e32 v5, v52, v11, vcc
	v_pk_add_f32 v[4:5], v[4:5], 1.0 op_sel_hi:[1,0]
	v_fma_f32 v10, -v8, v9, 1.0
	v_fmac_f32_e32 v9, v10, v9
	v_div_scale_f32 v10, vcc, 1.0, v7, 1.0
	v_mul_f32_e32 v11, v10, v9
	v_fma_f32 v27, -v8, v11, v10
	v_fmac_f32_e32 v11, v27, v9
	v_fma_f32 v8, -v8, v11, v10
	v_div_scale_f32 v10, s[0:1], v6, v6, 1.0
	v_rcp_f32_e32 v27, v10
	v_div_fmas_f32 v8, v8, v9, v11
	v_div_fixup_f32 v7, v8, v7, 1.0
	v_fma_f32 v8, -v10, v27, 1.0
	v_fmac_f32_e32 v27, v8, v27
	v_div_scale_f32 v8, vcc, 1.0, v6, 1.0
	v_mul_f32_e32 v9, v8, v27
	v_fma_f32 v11, -v10, v9, v8
	v_fmac_f32_e32 v9, v11, v27
	v_fma_f32 v8, -v10, v9, v8
	v_div_scale_f32 v10, s[0:1], v5, v5, 1.0
	v_rcp_f32_e32 v11, v10
	v_div_fmas_f32 v8, v8, v27, v9
	v_div_fixup_f32 v6, v8, v6, 1.0
	v_pk_mul_f32 v[2:3], v[2:3], v[6:7]
	v_fma_f32 v8, -v10, v11, 1.0
	v_fmac_f32_e32 v11, v8, v11
	v_div_scale_f32 v8, vcc, 1.0, v5, 1.0
	v_mul_f32_e32 v9, v8, v11
	v_fma_f32 v27, -v10, v9, v8
	v_fmac_f32_e32 v9, v27, v11
	v_fma_f32 v8, -v10, v9, v8
	v_div_scale_f32 v10, s[0:1], v4, v4, 1.0
	v_rcp_f32_e32 v27, v10
	v_div_fmas_f32 v8, v8, v11, v9
	v_div_fixup_f32 v5, v8, v5, 1.0
	v_fma_f32 v8, -v10, v27, 1.0
	v_fmac_f32_e32 v27, v8, v27
	v_div_scale_f32 v8, vcc, 1.0, v4, 1.0
	v_mul_f32_e32 v9, v8, v27
	v_fma_f32 v11, -v10, v9, v8
	v_fmac_f32_e32 v9, v11, v27
	v_fma_f32 v8, -v10, v9, v8
	v_div_fmas_f32 v8, v8, v27, v9
	v_div_fixup_f32 v4, v8, v4, 1.0
	v_pk_mul_f32 v[0:1], v[0:1], v[4:5]
	v_lshlrev_b32_e32 v4, 2, v26
	buffer_store_dwordx4 v[0:3], v4, s[12:15], 0 offen
	v_add_u32_e32 v26, s7, v26
	s_waitcnt vmcnt(2) lgkmcnt(0)
	v_pk_add_f32 v[0:1], v[12:13], v[16:17]
	s_waitcnt vmcnt(1)
	v_pk_add_f32 v[8:9], v[0:1], v[20:21]
	v_add_u32_e32 v20, s6, v24
	v_mul_f32_e32 v0, 0x3d92220c, v8
	v_fma_f32 v0, -v8, v0, s11
	v_mul_f32_e32 v2, v8, v0
	v_mul_f32_e32 v0, 0x3fb8aa3b, v2
	v_fma_f32 v1, v2, s10, -v0
	v_rndne_f32_e32 v3, v0
	v_fmac_f32_e32 v1, 0x32a5705f, v2
	v_sub_f32_e32 v0, v0, v3
	v_add_f32_e32 v0, v0, v1
	v_exp_f32_e32 v4, v0
	v_cvt_i32_f32_e32 v3, v3
	v_pk_add_f32 v[0:1], v[14:15], v[18:19]
	v_cmp_ngt_f32_e32 vcc, s9, v2
	v_pk_add_f32 v[10:11], v[0:1], v[22:23]
	v_ldexp_f32 v0, v4, v3
	v_cndmask_b32_e32 v0, 0, v0, vcc
	v_cmp_nlt_f32_e32 vcc, s8, v2
	v_add_u32_e32 v21, s16, v25
	s_nop 0
	v_cndmask_b32_e32 v12, v52, v0, vcc
	v_mul_f32_e32 v0, 0x3d92220c, v9
	v_fma_f32 v0, -v9, v0, s11
	v_mul_f32_e32 v13, v9, v0
	v_mul_f32_e32 v0, 0x3fb8aa3b, v13
	v_fma_f32 v1, v13, s10, -v0
	v_rndne_f32_e32 v2, v0
	v_fmac_f32_e32 v1, 0x32a5705f, v13
	v_sub_f32_e32 v0, v0, v2
	v_add_f32_e32 v0, v0, v1
	v_cvt_i32_f32_e32 v1, v2
	v_mul_f32_e32 v2, 0x3d92220c, v10
	v_fma_f32 v2, -v10, v2, s11
	v_exp_f32_e32 v0, v0
	v_mul_f32_e32 v14, v10, v2
	v_mul_f32_e32 v2, 0x3fb8aa3b, v14
	v_fma_f32 v3, v14, s10, -v2
	v_rndne_f32_e32 v4, v2
	v_fmac_f32_e32 v3, 0x32a5705f, v14
	v_sub_f32_e32 v2, v2, v4
	v_add_f32_e32 v2, v2, v3
	v_ldexp_f32 v0, v0, v1
	v_cmp_ngt_f32_e32 vcc, s9, v13
	v_exp_f32_e32 v2, v2
	v_cvt_i32_f32_e32 v3, v4
	v_cndmask_b32_e32 v16, 0, v0, vcc
	v_mul_f32_e32 v0, 0x3d92220c, v11
	v_fma_f32 v0, -v11, v0, s11
	v_mul_f32_e32 v17, v11, v0
	v_mul_f32_e32 v0, 0x3fb8aa3b, v17
	v_ldexp_f32 v15, v2, v3
	v_fma_f32 v1, v17, s10, -v0
	v_rndne_f32_e32 v2, v0
	v_fmac_f32_e32 v1, 0x32a5705f, v17
	v_sub_f32_e32 v0, v0, v2
	v_add_f32_e32 v0, v0, v1
	v_exp_f32_e32 v18, v0
	v_lshlrev_b32_e32 v0, 2, v20
	v_cvt_i32_f32_e32 v19, v2
	buffer_load_dwordx4 v[0:3], v0, s[20:23], 0 offen
	v_lshlrev_b32_e32 v4, 2, v21
	buffer_load_dwordx4 v[4:7], v4, s[24:27], 0 offen
	v_cmp_ngt_f32_e32 vcc, s9, v14
	s_nop 1
	v_cndmask_b32_e32 v15, 0, v15, vcc
	v_cmp_nlt_f32_e32 vcc, s8, v14
	s_nop 1
	v_cndmask_b32_e32 v14, v52, v15, vcc
	v_ldexp_f32 v15, v18, v19
	v_cmp_ngt_f32_e32 vcc, s9, v17
	s_nop 1
	v_cndmask_b32_e32 v15, 0, v15, vcc
	v_cmp_nlt_f32_e32 vcc, s8, v17
	s_nop 1
	v_cndmask_b32_e32 v15, v52, v15, vcc
	v_pk_add_f32 v[14:15], v[14:15], 1.0 op_sel_hi:[1,0]
	v_cmp_nlt_f32_e32 vcc, s8, v13
	v_div_scale_f32 v17, s[0:1], v15, v15, 1.0
	v_rcp_f32_e32 v18, v17
	v_cndmask_b32_e32 v13, v52, v16, vcc
	v_pk_add_f32 v[12:13], v[12:13], 1.0 op_sel_hi:[1,0]
	v_fma_f32 v16, -v17, v18, 1.0
	v_fmac_f32_e32 v18, v16, v18
	v_div_scale_f32 v16, vcc, 1.0, v15, 1.0
	v_mul_f32_e32 v19, v16, v18
	v_fma_f32 v22, -v17, v19, v16
	v_fmac_f32_e32 v19, v22, v18
	v_fma_f32 v16, -v17, v19, v16
	v_div_scale_f32 v17, s[0:1], v14, v14, 1.0
	v_rcp_f32_e32 v22, v17
	v_div_fmas_f32 v16, v16, v18, v19
	v_div_fixup_f32 v15, v16, v15, 1.0
	v_fma_f32 v16, -v17, v22, 1.0
	v_fmac_f32_e32 v22, v16, v22
	v_div_scale_f32 v16, vcc, 1.0, v14, 1.0
	v_mul_f32_e32 v18, v16, v22
	v_fma_f32 v19, -v17, v18, v16
	v_fmac_f32_e32 v18, v19, v22
	v_fma_f32 v16, -v17, v18, v16
	v_div_scale_f32 v17, s[0:1], v13, v13, 1.0
	v_rcp_f32_e32 v19, v17
	v_div_fmas_f32 v16, v16, v22, v18
	v_div_fixup_f32 v14, v16, v14, 1.0
	v_pk_mul_f32 v[10:11], v[10:11], v[14:15]
	v_fma_f32 v16, -v17, v19, 1.0
	v_fmac_f32_e32 v19, v16, v19
	v_div_scale_f32 v16, vcc, 1.0, v13, 1.0
	v_mul_f32_e32 v18, v16, v19
	v_fma_f32 v22, -v17, v18, v16
	v_fmac_f32_e32 v18, v22, v19
	v_fma_f32 v16, -v17, v18, v16
	v_div_scale_f32 v17, s[0:1], v12, v12, 1.0
	v_rcp_f32_e32 v22, v17
	v_div_fmas_f32 v16, v16, v19, v18
	v_div_fixup_f32 v13, v16, v13, 1.0
	v_fma_f32 v16, -v17, v22, 1.0
	v_fmac_f32_e32 v22, v16, v22
	v_div_scale_f32 v16, vcc, 1.0, v12, 1.0
	v_mul_f32_e32 v18, v16, v22
	v_fma_f32 v19, -v17, v18, v16
	v_fmac_f32_e32 v18, v19, v22
	v_fma_f32 v16, -v17, v18, v16
	v_div_fmas_f32 v16, v16, v22, v18
	v_div_fixup_f32 v12, v16, v12, 1.0
	v_pk_mul_f32 v[8:9], v[8:9], v[12:13]
	ds_read_b128 v[12:15], v53 offset:256
	v_lshlrev_b32_e32 v16, 2, v26
	buffer_store_dwordx4 v[8:11], v16, s[12:15], 0 offen
	v_add_lshl_u32 v16, v20, s6, 2
	ds_read_b128 v[8:11], v53 offset:384
	buffer_load_dwordx4 v[16:19], v16, s[20:23], 0 offen
	s_waitcnt vmcnt(3) lgkmcnt(1)
	v_pk_add_f32 v[0:1], v[12:13], v[0:1]
	v_add_lshl_u32 v12, v21, s16, 2
	buffer_load_dwordx4 v[20:23], v12, s[24:27], 0 offen
	s_waitcnt vmcnt(3)
	v_pk_add_f32 v[0:1], v[0:1], v[4:5]
	v_pk_add_f32 v[2:3], v[14:15], v[2:3]
	v_mul_f32_e32 v4, 0x3d92220c, v0
	v_fma_f32 v4, -v0, v4, s11
	v_mul_f32_e32 v4, v0, v4
	v_mul_f32_e32 v5, 0x3fb8aa3b, v4
	v_fma_f32 v12, v4, s10, -v5
	v_rndne_f32_e32 v13, v5
	v_fmac_f32_e32 v12, 0x32a5705f, v4
	v_sub_f32_e32 v5, v5, v13
	v_add_f32_e32 v5, v5, v12
	v_exp_f32_e32 v5, v5
	v_cvt_i32_f32_e32 v12, v13
	v_cmp_ngt_f32_e32 vcc, s9, v4
	v_pk_add_f32 v[2:3], v[2:3], v[6:7]
	v_add_u32_e32 v13, s7, v26
	v_ldexp_f32 v5, v5, v12
	v_cndmask_b32_e32 v5, 0, v5, vcc
	v_cmp_nlt_f32_e32 vcc, s8, v4
	s_nop 1
	v_cndmask_b32_e32 v4, v52, v5, vcc
	v_mul_f32_e32 v5, 0x3d92220c, v1
	v_fma_f32 v5, -v1, v5, s11
	v_mul_f32_e32 v5, v1, v5
	v_mul_f32_e32 v6, 0x3fb8aa3b, v5
	v_fma_f32 v7, v5, s10, -v6
	v_rndne_f32_e32 v12, v6
	v_fmac_f32_e32 v7, 0x32a5705f, v5
	v_sub_f32_e32 v6, v6, v12
	v_add_f32_e32 v6, v6, v7
	v_cvt_i32_f32_e32 v7, v12
	v_mul_f32_e32 v12, 0x3d92220c, v2
	v_fma_f32 v12, -v2, v12, s11
	v_mul_f32_e32 v12, v2, v12
	v_mul_f32_e32 v14, 0x3fb8aa3b, v12
	v_exp_f32_e32 v6, v6
	v_fma_f32 v15, v12, s10, -v14
	v_rndne_f32_e32 v24, v14
	v_fmac_f32_e32 v15, 0x32a5705f, v12
	v_sub_f32_e32 v14, v14, v24
	v_add_f32_e32 v14, v14, v15
	v_exp_f32_e32 v14, v14
	v_cvt_i32_f32_e32 v15, v24
	v_ldexp_f32 v6, v6, v7
	v_mul_f32_e32 v7, 0x3d92220c, v3
	v_fma_f32 v7, -v3, v7, s11
	v_cmp_ngt_f32_e32 vcc, s9, v5
	v_mul_f32_e32 v7, v3, v7
	s_nop 0
	v_cndmask_b32_e32 v24, 0, v6, vcc
	v_ldexp_f32 v6, v14, v15
	v_mul_f32_e32 v14, 0x3fb8aa3b, v7
	v_fma_f32 v15, v7, s10, -v14
	v_rndne_f32_e32 v25, v14
	v_fmac_f32_e32 v15, 0x32a5705f, v7
	v_sub_f32_e32 v14, v14, v25
	v_add_f32_e32 v14, v14, v15
	v_exp_f32_e32 v14, v14
	v_cvt_i32_f32_e32 v15, v25
	v_cmp_ngt_f32_e32 vcc, s9, v12
	s_nop 1
	v_cndmask_b32_e32 v6, 0, v6, vcc
	v_cmp_nlt_f32_e32 vcc, s8, v12
	v_ldexp_f32 v12, v14, v15
	s_nop 0
	v_cndmask_b32_e32 v6, v52, v6, vcc
	v_cmp_ngt_f32_e32 vcc, s9, v7
	s_nop 1
	v_cndmask_b32_e32 v12, 0, v12, vcc
	v_cmp_nlt_f32_e32 vcc, s8, v7
	s_nop 1
	v_cndmask_b32_e32 v7, v52, v12, vcc
	v_pk_add_f32 v[6:7], v[6:7], 1.0 op_sel_hi:[1,0]
	v_cmp_nlt_f32_e32 vcc, s8, v5
	v_div_scale_f32 v12, s[0:1], v7, v7, 1.0
	v_rcp_f32_e32 v14, v12
	v_cndmask_b32_e32 v5, v52, v24, vcc
	v_pk_add_f32 v[4:5], v[4:5], 1.0 op_sel_hi:[1,0]
	v_fma_f32 v15, -v12, v14, 1.0
	v_fmac_f32_e32 v14, v15, v14
	v_div_scale_f32 v15, vcc, 1.0, v7, 1.0
	v_mul_f32_e32 v24, v15, v14
	v_fma_f32 v25, -v12, v24, v15
	v_fmac_f32_e32 v24, v25, v14
	v_fma_f32 v12, -v12, v24, v15
	v_div_scale_f32 v15, s[0:1], v6, v6, 1.0
	v_rcp_f32_e32 v25, v15
	v_div_fmas_f32 v12, v12, v14, v24
	v_div_fixup_f32 v7, v12, v7, 1.0
	v_fma_f32 v12, -v15, v25, 1.0
	v_fmac_f32_e32 v25, v12, v25
	v_div_scale_f32 v12, vcc, 1.0, v6, 1.0
	v_mul_f32_e32 v14, v12, v25
	v_fma_f32 v24, -v15, v14, v12
	v_fmac_f32_e32 v14, v24, v25
	v_fma_f32 v12, -v15, v14, v12
	v_div_scale_f32 v15, s[0:1], v5, v5, 1.0
	v_rcp_f32_e32 v24, v15
	v_div_fmas_f32 v12, v12, v25, v14
	v_div_fixup_f32 v6, v12, v6, 1.0
	v_pk_mul_f32 v[2:3], v[2:3], v[6:7]
	v_fma_f32 v12, -v15, v24, 1.0
	v_fmac_f32_e32 v24, v12, v24
	v_div_scale_f32 v12, vcc, 1.0, v5, 1.0
	v_mul_f32_e32 v14, v12, v24
	v_fma_f32 v25, -v15, v14, v12
	v_fmac_f32_e32 v14, v25, v24
	v_fma_f32 v12, -v15, v14, v12
	v_div_scale_f32 v15, s[0:1], v4, v4, 1.0
	v_rcp_f32_e32 v25, v15
	v_div_fmas_f32 v12, v12, v24, v14
	v_div_fixup_f32 v5, v12, v5, 1.0
	v_lshlrev_b32_e32 v6, 2, v13
	v_fma_f32 v12, -v15, v25, 1.0
	v_fmac_f32_e32 v25, v12, v25
	v_div_scale_f32 v12, vcc, 1.0, v4, 1.0
	v_mul_f32_e32 v14, v12, v25
	v_fma_f32 v24, -v15, v14, v12
	v_fmac_f32_e32 v14, v24, v25
	v_fma_f32 v12, -v15, v14, v12
	v_div_fmas_f32 v12, v12, v25, v14
	v_div_fixup_f32 v4, v12, v4, 1.0
	v_pk_mul_f32 v[0:1], v[0:1], v[4:5]
	s_waitcnt vmcnt(1) lgkmcnt(0)
	v_pk_add_f32 v[4:5], v[8:9], v[16:17]
	buffer_store_dwordx4 v[0:3], v6, s[12:15], 0 offen
	s_waitcnt vmcnt(1)
	v_pk_add_f32 v[4:5], v[4:5], v[20:21]
	s_nop 0
	v_mul_f32_e32 v7, 0x3d92220c, v4
	v_fma_f32 v7, -v4, v7, s11
	v_mul_f32_e32 v7, v4, v7
	v_mul_f32_e32 v8, 0x3fb8aa3b, v7
	v_fma_f32 v9, v7, s10, -v8
	v_rndne_f32_e32 v12, v8
	v_fmac_f32_e32 v9, 0x32a5705f, v7
	v_sub_f32_e32 v8, v8, v12
	v_add_f32_e32 v8, v8, v9
	v_exp_f32_e32 v8, v8
	v_cvt_i32_f32_e32 v9, v12
	v_mul_f32_e32 v3, 0x3d92220c, v5
	v_fma_f32 v3, -v5, v3, s11
	v_mul_f32_e32 v3, v5, v3
	v_ldexp_f32 v2, v8, v9
	v_cmp_ngt_f32_e32 vcc, s9, v7
	v_mul_f32_e32 v6, 0x3fb8aa3b, v3
	v_pk_add_f32 v[0:1], v[10:11], v[18:19]
	v_cndmask_b32_e32 v2, 0, v2, vcc
	v_cmp_nlt_f32_e32 vcc, s8, v7
	v_fma_f32 v7, v3, s10, -v6
	v_rndne_f32_e32 v8, v6
	v_pk_add_f32 v[0:1], v[0:1], v[22:23]
	v_fmac_f32_e32 v7, 0x32a5705f, v3
	v_sub_f32_e32 v6, v6, v8
	v_add_f32_e32 v6, v6, v7
	v_cvt_i32_f32_e32 v7, v8
	v_mul_f32_e32 v8, 0x3d92220c, v0
	v_fma_f32 v8, -v0, v8, s11
	v_mul_f32_e32 v8, v0, v8
	v_mul_f32_e32 v9, 0x3fb8aa3b, v8
	v_exp_f32_e32 v6, v6
	v_fma_f32 v10, v8, s10, -v9
	v_rndne_f32_e32 v11, v9
	v_fmac_f32_e32 v10, 0x32a5705f, v8
	v_sub_f32_e32 v9, v9, v11
	v_add_f32_e32 v9, v9, v10
	v_exp_f32_e32 v9, v9
	v_cvt_i32_f32_e32 v10, v11
	v_ldexp_f32 v6, v6, v7
	v_mul_f32_e32 v7, 0x3d92220c, v1
	v_fma_f32 v7, -v1, v7, s11
	v_cndmask_b32_e32 v2, v52, v2, vcc
	v_cmp_ngt_f32_e32 vcc, s9, v3
	v_mul_f32_e32 v7, v1, v7
	s_nop 0
	v_cndmask_b32_e32 v11, 0, v6, vcc
	v_ldexp_f32 v6, v9, v10
	v_mul_f32_e32 v9, 0x3fb8aa3b, v7
	v_fma_f32 v10, v7, s10, -v9
	v_rndne_f32_e32 v12, v9
	v_fmac_f32_e32 v10, 0x32a5705f, v7
	v_sub_f32_e32 v9, v9, v12
	v_add_f32_e32 v9, v9, v10
	v_exp_f32_e32 v9, v9
	v_cvt_i32_f32_e32 v10, v12
	v_cmp_ngt_f32_e32 vcc, s9, v8
	s_nop 1
	v_cndmask_b32_e32 v6, 0, v6, vcc
	v_cmp_nlt_f32_e32 vcc, s8, v8
	v_ldexp_f32 v8, v9, v10
	s_nop 0
	v_cndmask_b32_e32 v6, v52, v6, vcc
	v_cmp_ngt_f32_e32 vcc, s9, v7
	s_nop 1
	v_cndmask_b32_e32 v8, 0, v8, vcc
	v_cmp_nlt_f32_e32 vcc, s8, v7
	s_nop 1
	v_cndmask_b32_e32 v7, v52, v8, vcc
	v_pk_add_f32 v[6:7], v[6:7], 1.0 op_sel_hi:[1,0]
	v_cmp_nlt_f32_e32 vcc, s8, v3
	v_div_scale_f32 v8, s[0:1], v7, v7, 1.0
	v_rcp_f32_e32 v9, v8
	v_cndmask_b32_e32 v3, v52, v11, vcc
	v_pk_add_f32 v[2:3], v[2:3], 1.0 op_sel_hi:[1,0]
	v_fma_f32 v10, -v8, v9, 1.0
	v_fmac_f32_e32 v9, v10, v9
	v_div_scale_f32 v10, vcc, 1.0, v7, 1.0
	v_mul_f32_e32 v11, v10, v9
	v_fma_f32 v12, -v8, v11, v10
	v_fmac_f32_e32 v11, v12, v9
	v_fma_f32 v8, -v8, v11, v10
	v_div_scale_f32 v10, s[0:1], v6, v6, 1.0
	v_rcp_f32_e32 v12, v10
	v_div_fmas_f32 v8, v8, v9, v11
	v_div_fixup_f32 v7, v8, v7, 1.0
	v_fma_f32 v8, -v10, v12, 1.0
	v_fmac_f32_e32 v12, v8, v12
	v_div_scale_f32 v8, vcc, 1.0, v6, 1.0
	v_mul_f32_e32 v9, v8, v12
	v_fma_f32 v11, -v10, v9, v8
	v_fmac_f32_e32 v9, v11, v12
	v_fma_f32 v8, -v10, v9, v8
	v_div_scale_f32 v10, s[0:1], v3, v3, 1.0
	v_rcp_f32_e32 v11, v10
	v_div_fmas_f32 v8, v8, v12, v9
	v_div_fixup_f32 v6, v8, v6, 1.0
	;; [unrolled: 11-line block ×3, first 2 shown]
	v_fma_f32 v3, -v10, v12, 1.0
	v_fmac_f32_e32 v12, v3, v12
	v_div_scale_f32 v3, vcc, 1.0, v2, 1.0
	v_mul_f32_e32 v8, v3, v12
	v_fma_f32 v11, -v10, v8, v3
	v_fmac_f32_e32 v8, v11, v12
	v_fma_f32 v3, -v10, v8, v3
	v_div_fmas_f32 v3, v3, v12, v8
	v_div_fixup_f32 v8, v3, v2, 1.0
	v_pk_mul_f32 v[2:3], v[0:1], v[6:7]
	v_pk_mul_f32 v[0:1], v[4:5], v[8:9]
	v_add_lshl_u32 v4, v13, s7, 2
	buffer_store_dwordx4 v[0:3], v4, s[12:15], 0 offen
	s_endpgm
	.section	.rodata,"a",@progbits
	.p2align	6, 0x0
	.amdhsa_kernel _ZN2ck51kernel_gemm_multiple_d_xdl_cshuffle_lds_direct_loadINS_48GridwiseGemmMultipleD_Xdl_CShuffle_LdsDirectLoadINS_13tensor_layout4gemm8RowMajorENS3_11ColumnMajorENS_5TupleIJS4_S4_EEES4_fffffNS6_IJffEEEfNS_16tensor_operation12element_wise11PassThroughESB_NSA_14AddAddFastGeluELNS_25InMemoryDataOperationEnumE0ELNS9_6device18GemmSpecializationE0ELi1ELi64ELi64ELi64ELi64ELi8ELi8ELi32ELi32ELi2ELi2ENS_8SequenceIJLi8ELi1ELi8EEEENSG_IJLi1ELi0ELi2EEEELi2ELi1ELi0ESH_SI_Li2ELi1ELi0ELi1ELi1ENSG_IJLi1ELi8ELi1ELi8EEEELi4ELNS_13LoopSchedulerE0ELNS_15PipelineVersionE2EfEEffNS6_IJPKfSO_EEEfSB_SB_SC_NS_16TensorDescriptorINS6_IJNS_5EmbedINS6_IJiiEEENS6_IJiNS_17integral_constantIiLi1EEEEEELb0EEENS_11PassThroughIiEESY_NS_7UnMergeINS6_IJiNST_IiLi8EEEEEELb0EEESY_EEENS6_IJNSG_IJLi0EEEENSG_IJLi1EEEENSG_IJLi2EEEENSG_IJLi4EEEENSG_IJLi3EEEEEEENS6_IJNSG_IJLi1ELi2EEEES18_S17_NSG_IJLi5ELi6EEEENSG_IJLi7EEEEEEENSG_IJLi5ELi7ELi6EEEElEES1F_NS6_IJNSQ_INS6_IJSW_SY_SY_NSZ_INS6_IJiNST_IiLi64EEEEEELb0EEES1I_EEENS6_IJS14_S15_S16_S18_S17_EEENS6_IJS1A_S18_S17_S1B_NSG_IJLi7ELi8EEEEEEENSG_IJLi5ELi6ELi7ELi8EEEElEES1O_EEES1O_NS_31BlockToCTileMap_M00_N0_M01AdaptILi64ELi64ENSQ_INS6_IJSW_SY_SY_EEENS6_IJS14_S15_S16_EEENS6_IJS1A_S18_S17_EEENSG_IJLi3ELi4EEEElEEiEELb1ELi2EEEvPKT0_PKT1_T2_PT3_T4_T5_T6_T7_T8_T9_T10_T11_
		.amdhsa_group_segment_fixed_size 32768
		.amdhsa_private_segment_fixed_size 0
		.amdhsa_kernarg_size 364
		.amdhsa_user_sgpr_count 2
		.amdhsa_user_sgpr_dispatch_ptr 0
		.amdhsa_user_sgpr_queue_ptr 0
		.amdhsa_user_sgpr_kernarg_segment_ptr 1
		.amdhsa_user_sgpr_dispatch_id 0
		.amdhsa_user_sgpr_kernarg_preload_length 0
		.amdhsa_user_sgpr_kernarg_preload_offset 0
		.amdhsa_user_sgpr_private_segment_size 0
		.amdhsa_uses_dynamic_stack 0
		.amdhsa_enable_private_segment 0
		.amdhsa_system_sgpr_workgroup_id_x 1
		.amdhsa_system_sgpr_workgroup_id_y 0
		.amdhsa_system_sgpr_workgroup_id_z 0
		.amdhsa_system_sgpr_workgroup_info 0
		.amdhsa_system_vgpr_workitem_id 0
		.amdhsa_next_free_vgpr 249
		.amdhsa_next_free_sgpr 100
		.amdhsa_accum_offset 252
		.amdhsa_reserve_vcc 1
		.amdhsa_float_round_mode_32 0
		.amdhsa_float_round_mode_16_64 0
		.amdhsa_float_denorm_mode_32 3
		.amdhsa_float_denorm_mode_16_64 3
		.amdhsa_dx10_clamp 1
		.amdhsa_ieee_mode 1
		.amdhsa_fp16_overflow 0
		.amdhsa_tg_split 0
		.amdhsa_exception_fp_ieee_invalid_op 0
		.amdhsa_exception_fp_denorm_src 0
		.amdhsa_exception_fp_ieee_div_zero 0
		.amdhsa_exception_fp_ieee_overflow 0
		.amdhsa_exception_fp_ieee_underflow 0
		.amdhsa_exception_fp_ieee_inexact 0
		.amdhsa_exception_int_div_zero 0
	.end_amdhsa_kernel
	.section	.text._ZN2ck51kernel_gemm_multiple_d_xdl_cshuffle_lds_direct_loadINS_48GridwiseGemmMultipleD_Xdl_CShuffle_LdsDirectLoadINS_13tensor_layout4gemm8RowMajorENS3_11ColumnMajorENS_5TupleIJS4_S4_EEES4_fffffNS6_IJffEEEfNS_16tensor_operation12element_wise11PassThroughESB_NSA_14AddAddFastGeluELNS_25InMemoryDataOperationEnumE0ELNS9_6device18GemmSpecializationE0ELi1ELi64ELi64ELi64ELi64ELi8ELi8ELi32ELi32ELi2ELi2ENS_8SequenceIJLi8ELi1ELi8EEEENSG_IJLi1ELi0ELi2EEEELi2ELi1ELi0ESH_SI_Li2ELi1ELi0ELi1ELi1ENSG_IJLi1ELi8ELi1ELi8EEEELi4ELNS_13LoopSchedulerE0ELNS_15PipelineVersionE2EfEEffNS6_IJPKfSO_EEEfSB_SB_SC_NS_16TensorDescriptorINS6_IJNS_5EmbedINS6_IJiiEEENS6_IJiNS_17integral_constantIiLi1EEEEEELb0EEENS_11PassThroughIiEESY_NS_7UnMergeINS6_IJiNST_IiLi8EEEEEELb0EEESY_EEENS6_IJNSG_IJLi0EEEENSG_IJLi1EEEENSG_IJLi2EEEENSG_IJLi4EEEENSG_IJLi3EEEEEEENS6_IJNSG_IJLi1ELi2EEEES18_S17_NSG_IJLi5ELi6EEEENSG_IJLi7EEEEEEENSG_IJLi5ELi7ELi6EEEElEES1F_NS6_IJNSQ_INS6_IJSW_SY_SY_NSZ_INS6_IJiNST_IiLi64EEEEEELb0EEES1I_EEENS6_IJS14_S15_S16_S18_S17_EEENS6_IJS1A_S18_S17_S1B_NSG_IJLi7ELi8EEEEEEENSG_IJLi5ELi6ELi7ELi8EEEElEES1O_EEES1O_NS_31BlockToCTileMap_M00_N0_M01AdaptILi64ELi64ENSQ_INS6_IJSW_SY_SY_EEENS6_IJS14_S15_S16_EEENS6_IJS1A_S18_S17_EEENSG_IJLi3ELi4EEEElEEiEELb1ELi2EEEvPKT0_PKT1_T2_PT3_T4_T5_T6_T7_T8_T9_T10_T11_,"axG",@progbits,_ZN2ck51kernel_gemm_multiple_d_xdl_cshuffle_lds_direct_loadINS_48GridwiseGemmMultipleD_Xdl_CShuffle_LdsDirectLoadINS_13tensor_layout4gemm8RowMajorENS3_11ColumnMajorENS_5TupleIJS4_S4_EEES4_fffffNS6_IJffEEEfNS_16tensor_operation12element_wise11PassThroughESB_NSA_14AddAddFastGeluELNS_25InMemoryDataOperationEnumE0ELNS9_6device18GemmSpecializationE0ELi1ELi64ELi64ELi64ELi64ELi8ELi8ELi32ELi32ELi2ELi2ENS_8SequenceIJLi8ELi1ELi8EEEENSG_IJLi1ELi0ELi2EEEELi2ELi1ELi0ESH_SI_Li2ELi1ELi0ELi1ELi1ENSG_IJLi1ELi8ELi1ELi8EEEELi4ELNS_13LoopSchedulerE0ELNS_15PipelineVersionE2EfEEffNS6_IJPKfSO_EEEfSB_SB_SC_NS_16TensorDescriptorINS6_IJNS_5EmbedINS6_IJiiEEENS6_IJiNS_17integral_constantIiLi1EEEEEELb0EEENS_11PassThroughIiEESY_NS_7UnMergeINS6_IJiNST_IiLi8EEEEEELb0EEESY_EEENS6_IJNSG_IJLi0EEEENSG_IJLi1EEEENSG_IJLi2EEEENSG_IJLi4EEEENSG_IJLi3EEEEEEENS6_IJNSG_IJLi1ELi2EEEES18_S17_NSG_IJLi5ELi6EEEENSG_IJLi7EEEEEEENSG_IJLi5ELi7ELi6EEEElEES1F_NS6_IJNSQ_INS6_IJSW_SY_SY_NSZ_INS6_IJiNST_IiLi64EEEEEELb0EEES1I_EEENS6_IJS14_S15_S16_S18_S17_EEENS6_IJS1A_S18_S17_S1B_NSG_IJLi7ELi8EEEEEEENSG_IJLi5ELi6ELi7ELi8EEEElEES1O_EEES1O_NS_31BlockToCTileMap_M00_N0_M01AdaptILi64ELi64ENSQ_INS6_IJSW_SY_SY_EEENS6_IJS14_S15_S16_EEENS6_IJS1A_S18_S17_EEENSG_IJLi3ELi4EEEElEEiEELb1ELi2EEEvPKT0_PKT1_T2_PT3_T4_T5_T6_T7_T8_T9_T10_T11_,comdat
.Lfunc_end1:
	.size	_ZN2ck51kernel_gemm_multiple_d_xdl_cshuffle_lds_direct_loadINS_48GridwiseGemmMultipleD_Xdl_CShuffle_LdsDirectLoadINS_13tensor_layout4gemm8RowMajorENS3_11ColumnMajorENS_5TupleIJS4_S4_EEES4_fffffNS6_IJffEEEfNS_16tensor_operation12element_wise11PassThroughESB_NSA_14AddAddFastGeluELNS_25InMemoryDataOperationEnumE0ELNS9_6device18GemmSpecializationE0ELi1ELi64ELi64ELi64ELi64ELi8ELi8ELi32ELi32ELi2ELi2ENS_8SequenceIJLi8ELi1ELi8EEEENSG_IJLi1ELi0ELi2EEEELi2ELi1ELi0ESH_SI_Li2ELi1ELi0ELi1ELi1ENSG_IJLi1ELi8ELi1ELi8EEEELi4ELNS_13LoopSchedulerE0ELNS_15PipelineVersionE2EfEEffNS6_IJPKfSO_EEEfSB_SB_SC_NS_16TensorDescriptorINS6_IJNS_5EmbedINS6_IJiiEEENS6_IJiNS_17integral_constantIiLi1EEEEEELb0EEENS_11PassThroughIiEESY_NS_7UnMergeINS6_IJiNST_IiLi8EEEEEELb0EEESY_EEENS6_IJNSG_IJLi0EEEENSG_IJLi1EEEENSG_IJLi2EEEENSG_IJLi4EEEENSG_IJLi3EEEEEEENS6_IJNSG_IJLi1ELi2EEEES18_S17_NSG_IJLi5ELi6EEEENSG_IJLi7EEEEEEENSG_IJLi5ELi7ELi6EEEElEES1F_NS6_IJNSQ_INS6_IJSW_SY_SY_NSZ_INS6_IJiNST_IiLi64EEEEEELb0EEES1I_EEENS6_IJS14_S15_S16_S18_S17_EEENS6_IJS1A_S18_S17_S1B_NSG_IJLi7ELi8EEEEEEENSG_IJLi5ELi6ELi7ELi8EEEElEES1O_EEES1O_NS_31BlockToCTileMap_M00_N0_M01AdaptILi64ELi64ENSQ_INS6_IJSW_SY_SY_EEENS6_IJS14_S15_S16_EEENS6_IJS1A_S18_S17_EEENSG_IJLi3ELi4EEEElEEiEELb1ELi2EEEvPKT0_PKT1_T2_PT3_T4_T5_T6_T7_T8_T9_T10_T11_, .Lfunc_end1-_ZN2ck51kernel_gemm_multiple_d_xdl_cshuffle_lds_direct_loadINS_48GridwiseGemmMultipleD_Xdl_CShuffle_LdsDirectLoadINS_13tensor_layout4gemm8RowMajorENS3_11ColumnMajorENS_5TupleIJS4_S4_EEES4_fffffNS6_IJffEEEfNS_16tensor_operation12element_wise11PassThroughESB_NSA_14AddAddFastGeluELNS_25InMemoryDataOperationEnumE0ELNS9_6device18GemmSpecializationE0ELi1ELi64ELi64ELi64ELi64ELi8ELi8ELi32ELi32ELi2ELi2ENS_8SequenceIJLi8ELi1ELi8EEEENSG_IJLi1ELi0ELi2EEEELi2ELi1ELi0ESH_SI_Li2ELi1ELi0ELi1ELi1ENSG_IJLi1ELi8ELi1ELi8EEEELi4ELNS_13LoopSchedulerE0ELNS_15PipelineVersionE2EfEEffNS6_IJPKfSO_EEEfSB_SB_SC_NS_16TensorDescriptorINS6_IJNS_5EmbedINS6_IJiiEEENS6_IJiNS_17integral_constantIiLi1EEEEEELb0EEENS_11PassThroughIiEESY_NS_7UnMergeINS6_IJiNST_IiLi8EEEEEELb0EEESY_EEENS6_IJNSG_IJLi0EEEENSG_IJLi1EEEENSG_IJLi2EEEENSG_IJLi4EEEENSG_IJLi3EEEEEEENS6_IJNSG_IJLi1ELi2EEEES18_S17_NSG_IJLi5ELi6EEEENSG_IJLi7EEEEEEENSG_IJLi5ELi7ELi6EEEElEES1F_NS6_IJNSQ_INS6_IJSW_SY_SY_NSZ_INS6_IJiNST_IiLi64EEEEEELb0EEES1I_EEENS6_IJS14_S15_S16_S18_S17_EEENS6_IJS1A_S18_S17_S1B_NSG_IJLi7ELi8EEEEEEENSG_IJLi5ELi6ELi7ELi8EEEElEES1O_EEES1O_NS_31BlockToCTileMap_M00_N0_M01AdaptILi64ELi64ENSQ_INS6_IJSW_SY_SY_EEENS6_IJS14_S15_S16_EEENS6_IJS1A_S18_S17_EEENSG_IJLi3ELi4EEEElEEiEELb1ELi2EEEvPKT0_PKT1_T2_PT3_T4_T5_T6_T7_T8_T9_T10_T11_
                                        ; -- End function
	.set _ZN2ck51kernel_gemm_multiple_d_xdl_cshuffle_lds_direct_loadINS_48GridwiseGemmMultipleD_Xdl_CShuffle_LdsDirectLoadINS_13tensor_layout4gemm8RowMajorENS3_11ColumnMajorENS_5TupleIJS4_S4_EEES4_fffffNS6_IJffEEEfNS_16tensor_operation12element_wise11PassThroughESB_NSA_14AddAddFastGeluELNS_25InMemoryDataOperationEnumE0ELNS9_6device18GemmSpecializationE0ELi1ELi64ELi64ELi64ELi64ELi8ELi8ELi32ELi32ELi2ELi2ENS_8SequenceIJLi8ELi1ELi8EEEENSG_IJLi1ELi0ELi2EEEELi2ELi1ELi0ESH_SI_Li2ELi1ELi0ELi1ELi1ENSG_IJLi1ELi8ELi1ELi8EEEELi4ELNS_13LoopSchedulerE0ELNS_15PipelineVersionE2EfEEffNS6_IJPKfSO_EEEfSB_SB_SC_NS_16TensorDescriptorINS6_IJNS_5EmbedINS6_IJiiEEENS6_IJiNS_17integral_constantIiLi1EEEEEELb0EEENS_11PassThroughIiEESY_NS_7UnMergeINS6_IJiNST_IiLi8EEEEEELb0EEESY_EEENS6_IJNSG_IJLi0EEEENSG_IJLi1EEEENSG_IJLi2EEEENSG_IJLi4EEEENSG_IJLi3EEEEEEENS6_IJNSG_IJLi1ELi2EEEES18_S17_NSG_IJLi5ELi6EEEENSG_IJLi7EEEEEEENSG_IJLi5ELi7ELi6EEEElEES1F_NS6_IJNSQ_INS6_IJSW_SY_SY_NSZ_INS6_IJiNST_IiLi64EEEEEELb0EEES1I_EEENS6_IJS14_S15_S16_S18_S17_EEENS6_IJS1A_S18_S17_S1B_NSG_IJLi7ELi8EEEEEEENSG_IJLi5ELi6ELi7ELi8EEEElEES1O_EEES1O_NS_31BlockToCTileMap_M00_N0_M01AdaptILi64ELi64ENSQ_INS6_IJSW_SY_SY_EEENS6_IJS14_S15_S16_EEENS6_IJS1A_S18_S17_EEENSG_IJLi3ELi4EEEElEEiEELb1ELi2EEEvPKT0_PKT1_T2_PT3_T4_T5_T6_T7_T8_T9_T10_T11_.num_vgpr, 249
	.set _ZN2ck51kernel_gemm_multiple_d_xdl_cshuffle_lds_direct_loadINS_48GridwiseGemmMultipleD_Xdl_CShuffle_LdsDirectLoadINS_13tensor_layout4gemm8RowMajorENS3_11ColumnMajorENS_5TupleIJS4_S4_EEES4_fffffNS6_IJffEEEfNS_16tensor_operation12element_wise11PassThroughESB_NSA_14AddAddFastGeluELNS_25InMemoryDataOperationEnumE0ELNS9_6device18GemmSpecializationE0ELi1ELi64ELi64ELi64ELi64ELi8ELi8ELi32ELi32ELi2ELi2ENS_8SequenceIJLi8ELi1ELi8EEEENSG_IJLi1ELi0ELi2EEEELi2ELi1ELi0ESH_SI_Li2ELi1ELi0ELi1ELi1ENSG_IJLi1ELi8ELi1ELi8EEEELi4ELNS_13LoopSchedulerE0ELNS_15PipelineVersionE2EfEEffNS6_IJPKfSO_EEEfSB_SB_SC_NS_16TensorDescriptorINS6_IJNS_5EmbedINS6_IJiiEEENS6_IJiNS_17integral_constantIiLi1EEEEEELb0EEENS_11PassThroughIiEESY_NS_7UnMergeINS6_IJiNST_IiLi8EEEEEELb0EEESY_EEENS6_IJNSG_IJLi0EEEENSG_IJLi1EEEENSG_IJLi2EEEENSG_IJLi4EEEENSG_IJLi3EEEEEEENS6_IJNSG_IJLi1ELi2EEEES18_S17_NSG_IJLi5ELi6EEEENSG_IJLi7EEEEEEENSG_IJLi5ELi7ELi6EEEElEES1F_NS6_IJNSQ_INS6_IJSW_SY_SY_NSZ_INS6_IJiNST_IiLi64EEEEEELb0EEES1I_EEENS6_IJS14_S15_S16_S18_S17_EEENS6_IJS1A_S18_S17_S1B_NSG_IJLi7ELi8EEEEEEENSG_IJLi5ELi6ELi7ELi8EEEElEES1O_EEES1O_NS_31BlockToCTileMap_M00_N0_M01AdaptILi64ELi64ENSQ_INS6_IJSW_SY_SY_EEENS6_IJS14_S15_S16_EEENS6_IJS1A_S18_S17_EEENSG_IJLi3ELi4EEEElEEiEELb1ELi2EEEvPKT0_PKT1_T2_PT3_T4_T5_T6_T7_T8_T9_T10_T11_.num_agpr, 0
	.set _ZN2ck51kernel_gemm_multiple_d_xdl_cshuffle_lds_direct_loadINS_48GridwiseGemmMultipleD_Xdl_CShuffle_LdsDirectLoadINS_13tensor_layout4gemm8RowMajorENS3_11ColumnMajorENS_5TupleIJS4_S4_EEES4_fffffNS6_IJffEEEfNS_16tensor_operation12element_wise11PassThroughESB_NSA_14AddAddFastGeluELNS_25InMemoryDataOperationEnumE0ELNS9_6device18GemmSpecializationE0ELi1ELi64ELi64ELi64ELi64ELi8ELi8ELi32ELi32ELi2ELi2ENS_8SequenceIJLi8ELi1ELi8EEEENSG_IJLi1ELi0ELi2EEEELi2ELi1ELi0ESH_SI_Li2ELi1ELi0ELi1ELi1ENSG_IJLi1ELi8ELi1ELi8EEEELi4ELNS_13LoopSchedulerE0ELNS_15PipelineVersionE2EfEEffNS6_IJPKfSO_EEEfSB_SB_SC_NS_16TensorDescriptorINS6_IJNS_5EmbedINS6_IJiiEEENS6_IJiNS_17integral_constantIiLi1EEEEEELb0EEENS_11PassThroughIiEESY_NS_7UnMergeINS6_IJiNST_IiLi8EEEEEELb0EEESY_EEENS6_IJNSG_IJLi0EEEENSG_IJLi1EEEENSG_IJLi2EEEENSG_IJLi4EEEENSG_IJLi3EEEEEEENS6_IJNSG_IJLi1ELi2EEEES18_S17_NSG_IJLi5ELi6EEEENSG_IJLi7EEEEEEENSG_IJLi5ELi7ELi6EEEElEES1F_NS6_IJNSQ_INS6_IJSW_SY_SY_NSZ_INS6_IJiNST_IiLi64EEEEEELb0EEES1I_EEENS6_IJS14_S15_S16_S18_S17_EEENS6_IJS1A_S18_S17_S1B_NSG_IJLi7ELi8EEEEEEENSG_IJLi5ELi6ELi7ELi8EEEElEES1O_EEES1O_NS_31BlockToCTileMap_M00_N0_M01AdaptILi64ELi64ENSQ_INS6_IJSW_SY_SY_EEENS6_IJS14_S15_S16_EEENS6_IJS1A_S18_S17_EEENSG_IJLi3ELi4EEEElEEiEELb1ELi2EEEvPKT0_PKT1_T2_PT3_T4_T5_T6_T7_T8_T9_T10_T11_.numbered_sgpr, 100
	.set _ZN2ck51kernel_gemm_multiple_d_xdl_cshuffle_lds_direct_loadINS_48GridwiseGemmMultipleD_Xdl_CShuffle_LdsDirectLoadINS_13tensor_layout4gemm8RowMajorENS3_11ColumnMajorENS_5TupleIJS4_S4_EEES4_fffffNS6_IJffEEEfNS_16tensor_operation12element_wise11PassThroughESB_NSA_14AddAddFastGeluELNS_25InMemoryDataOperationEnumE0ELNS9_6device18GemmSpecializationE0ELi1ELi64ELi64ELi64ELi64ELi8ELi8ELi32ELi32ELi2ELi2ENS_8SequenceIJLi8ELi1ELi8EEEENSG_IJLi1ELi0ELi2EEEELi2ELi1ELi0ESH_SI_Li2ELi1ELi0ELi1ELi1ENSG_IJLi1ELi8ELi1ELi8EEEELi4ELNS_13LoopSchedulerE0ELNS_15PipelineVersionE2EfEEffNS6_IJPKfSO_EEEfSB_SB_SC_NS_16TensorDescriptorINS6_IJNS_5EmbedINS6_IJiiEEENS6_IJiNS_17integral_constantIiLi1EEEEEELb0EEENS_11PassThroughIiEESY_NS_7UnMergeINS6_IJiNST_IiLi8EEEEEELb0EEESY_EEENS6_IJNSG_IJLi0EEEENSG_IJLi1EEEENSG_IJLi2EEEENSG_IJLi4EEEENSG_IJLi3EEEEEEENS6_IJNSG_IJLi1ELi2EEEES18_S17_NSG_IJLi5ELi6EEEENSG_IJLi7EEEEEEENSG_IJLi5ELi7ELi6EEEElEES1F_NS6_IJNSQ_INS6_IJSW_SY_SY_NSZ_INS6_IJiNST_IiLi64EEEEEELb0EEES1I_EEENS6_IJS14_S15_S16_S18_S17_EEENS6_IJS1A_S18_S17_S1B_NSG_IJLi7ELi8EEEEEEENSG_IJLi5ELi6ELi7ELi8EEEElEES1O_EEES1O_NS_31BlockToCTileMap_M00_N0_M01AdaptILi64ELi64ENSQ_INS6_IJSW_SY_SY_EEENS6_IJS14_S15_S16_EEENS6_IJS1A_S18_S17_EEENSG_IJLi3ELi4EEEElEEiEELb1ELi2EEEvPKT0_PKT1_T2_PT3_T4_T5_T6_T7_T8_T9_T10_T11_.num_named_barrier, 0
	.set _ZN2ck51kernel_gemm_multiple_d_xdl_cshuffle_lds_direct_loadINS_48GridwiseGemmMultipleD_Xdl_CShuffle_LdsDirectLoadINS_13tensor_layout4gemm8RowMajorENS3_11ColumnMajorENS_5TupleIJS4_S4_EEES4_fffffNS6_IJffEEEfNS_16tensor_operation12element_wise11PassThroughESB_NSA_14AddAddFastGeluELNS_25InMemoryDataOperationEnumE0ELNS9_6device18GemmSpecializationE0ELi1ELi64ELi64ELi64ELi64ELi8ELi8ELi32ELi32ELi2ELi2ENS_8SequenceIJLi8ELi1ELi8EEEENSG_IJLi1ELi0ELi2EEEELi2ELi1ELi0ESH_SI_Li2ELi1ELi0ELi1ELi1ENSG_IJLi1ELi8ELi1ELi8EEEELi4ELNS_13LoopSchedulerE0ELNS_15PipelineVersionE2EfEEffNS6_IJPKfSO_EEEfSB_SB_SC_NS_16TensorDescriptorINS6_IJNS_5EmbedINS6_IJiiEEENS6_IJiNS_17integral_constantIiLi1EEEEEELb0EEENS_11PassThroughIiEESY_NS_7UnMergeINS6_IJiNST_IiLi8EEEEEELb0EEESY_EEENS6_IJNSG_IJLi0EEEENSG_IJLi1EEEENSG_IJLi2EEEENSG_IJLi4EEEENSG_IJLi3EEEEEEENS6_IJNSG_IJLi1ELi2EEEES18_S17_NSG_IJLi5ELi6EEEENSG_IJLi7EEEEEEENSG_IJLi5ELi7ELi6EEEElEES1F_NS6_IJNSQ_INS6_IJSW_SY_SY_NSZ_INS6_IJiNST_IiLi64EEEEEELb0EEES1I_EEENS6_IJS14_S15_S16_S18_S17_EEENS6_IJS1A_S18_S17_S1B_NSG_IJLi7ELi8EEEEEEENSG_IJLi5ELi6ELi7ELi8EEEElEES1O_EEES1O_NS_31BlockToCTileMap_M00_N0_M01AdaptILi64ELi64ENSQ_INS6_IJSW_SY_SY_EEENS6_IJS14_S15_S16_EEENS6_IJS1A_S18_S17_EEENSG_IJLi3ELi4EEEElEEiEELb1ELi2EEEvPKT0_PKT1_T2_PT3_T4_T5_T6_T7_T8_T9_T10_T11_.private_seg_size, 0
	.set _ZN2ck51kernel_gemm_multiple_d_xdl_cshuffle_lds_direct_loadINS_48GridwiseGemmMultipleD_Xdl_CShuffle_LdsDirectLoadINS_13tensor_layout4gemm8RowMajorENS3_11ColumnMajorENS_5TupleIJS4_S4_EEES4_fffffNS6_IJffEEEfNS_16tensor_operation12element_wise11PassThroughESB_NSA_14AddAddFastGeluELNS_25InMemoryDataOperationEnumE0ELNS9_6device18GemmSpecializationE0ELi1ELi64ELi64ELi64ELi64ELi8ELi8ELi32ELi32ELi2ELi2ENS_8SequenceIJLi8ELi1ELi8EEEENSG_IJLi1ELi0ELi2EEEELi2ELi1ELi0ESH_SI_Li2ELi1ELi0ELi1ELi1ENSG_IJLi1ELi8ELi1ELi8EEEELi4ELNS_13LoopSchedulerE0ELNS_15PipelineVersionE2EfEEffNS6_IJPKfSO_EEEfSB_SB_SC_NS_16TensorDescriptorINS6_IJNS_5EmbedINS6_IJiiEEENS6_IJiNS_17integral_constantIiLi1EEEEEELb0EEENS_11PassThroughIiEESY_NS_7UnMergeINS6_IJiNST_IiLi8EEEEEELb0EEESY_EEENS6_IJNSG_IJLi0EEEENSG_IJLi1EEEENSG_IJLi2EEEENSG_IJLi4EEEENSG_IJLi3EEEEEEENS6_IJNSG_IJLi1ELi2EEEES18_S17_NSG_IJLi5ELi6EEEENSG_IJLi7EEEEEEENSG_IJLi5ELi7ELi6EEEElEES1F_NS6_IJNSQ_INS6_IJSW_SY_SY_NSZ_INS6_IJiNST_IiLi64EEEEEELb0EEES1I_EEENS6_IJS14_S15_S16_S18_S17_EEENS6_IJS1A_S18_S17_S1B_NSG_IJLi7ELi8EEEEEEENSG_IJLi5ELi6ELi7ELi8EEEElEES1O_EEES1O_NS_31BlockToCTileMap_M00_N0_M01AdaptILi64ELi64ENSQ_INS6_IJSW_SY_SY_EEENS6_IJS14_S15_S16_EEENS6_IJS1A_S18_S17_EEENSG_IJLi3ELi4EEEElEEiEELb1ELi2EEEvPKT0_PKT1_T2_PT3_T4_T5_T6_T7_T8_T9_T10_T11_.uses_vcc, 1
	.set _ZN2ck51kernel_gemm_multiple_d_xdl_cshuffle_lds_direct_loadINS_48GridwiseGemmMultipleD_Xdl_CShuffle_LdsDirectLoadINS_13tensor_layout4gemm8RowMajorENS3_11ColumnMajorENS_5TupleIJS4_S4_EEES4_fffffNS6_IJffEEEfNS_16tensor_operation12element_wise11PassThroughESB_NSA_14AddAddFastGeluELNS_25InMemoryDataOperationEnumE0ELNS9_6device18GemmSpecializationE0ELi1ELi64ELi64ELi64ELi64ELi8ELi8ELi32ELi32ELi2ELi2ENS_8SequenceIJLi8ELi1ELi8EEEENSG_IJLi1ELi0ELi2EEEELi2ELi1ELi0ESH_SI_Li2ELi1ELi0ELi1ELi1ENSG_IJLi1ELi8ELi1ELi8EEEELi4ELNS_13LoopSchedulerE0ELNS_15PipelineVersionE2EfEEffNS6_IJPKfSO_EEEfSB_SB_SC_NS_16TensorDescriptorINS6_IJNS_5EmbedINS6_IJiiEEENS6_IJiNS_17integral_constantIiLi1EEEEEELb0EEENS_11PassThroughIiEESY_NS_7UnMergeINS6_IJiNST_IiLi8EEEEEELb0EEESY_EEENS6_IJNSG_IJLi0EEEENSG_IJLi1EEEENSG_IJLi2EEEENSG_IJLi4EEEENSG_IJLi3EEEEEEENS6_IJNSG_IJLi1ELi2EEEES18_S17_NSG_IJLi5ELi6EEEENSG_IJLi7EEEEEEENSG_IJLi5ELi7ELi6EEEElEES1F_NS6_IJNSQ_INS6_IJSW_SY_SY_NSZ_INS6_IJiNST_IiLi64EEEEEELb0EEES1I_EEENS6_IJS14_S15_S16_S18_S17_EEENS6_IJS1A_S18_S17_S1B_NSG_IJLi7ELi8EEEEEEENSG_IJLi5ELi6ELi7ELi8EEEElEES1O_EEES1O_NS_31BlockToCTileMap_M00_N0_M01AdaptILi64ELi64ENSQ_INS6_IJSW_SY_SY_EEENS6_IJS14_S15_S16_EEENS6_IJS1A_S18_S17_EEENSG_IJLi3ELi4EEEElEEiEELb1ELi2EEEvPKT0_PKT1_T2_PT3_T4_T5_T6_T7_T8_T9_T10_T11_.uses_flat_scratch, 0
	.set _ZN2ck51kernel_gemm_multiple_d_xdl_cshuffle_lds_direct_loadINS_48GridwiseGemmMultipleD_Xdl_CShuffle_LdsDirectLoadINS_13tensor_layout4gemm8RowMajorENS3_11ColumnMajorENS_5TupleIJS4_S4_EEES4_fffffNS6_IJffEEEfNS_16tensor_operation12element_wise11PassThroughESB_NSA_14AddAddFastGeluELNS_25InMemoryDataOperationEnumE0ELNS9_6device18GemmSpecializationE0ELi1ELi64ELi64ELi64ELi64ELi8ELi8ELi32ELi32ELi2ELi2ENS_8SequenceIJLi8ELi1ELi8EEEENSG_IJLi1ELi0ELi2EEEELi2ELi1ELi0ESH_SI_Li2ELi1ELi0ELi1ELi1ENSG_IJLi1ELi8ELi1ELi8EEEELi4ELNS_13LoopSchedulerE0ELNS_15PipelineVersionE2EfEEffNS6_IJPKfSO_EEEfSB_SB_SC_NS_16TensorDescriptorINS6_IJNS_5EmbedINS6_IJiiEEENS6_IJiNS_17integral_constantIiLi1EEEEEELb0EEENS_11PassThroughIiEESY_NS_7UnMergeINS6_IJiNST_IiLi8EEEEEELb0EEESY_EEENS6_IJNSG_IJLi0EEEENSG_IJLi1EEEENSG_IJLi2EEEENSG_IJLi4EEEENSG_IJLi3EEEEEEENS6_IJNSG_IJLi1ELi2EEEES18_S17_NSG_IJLi5ELi6EEEENSG_IJLi7EEEEEEENSG_IJLi5ELi7ELi6EEEElEES1F_NS6_IJNSQ_INS6_IJSW_SY_SY_NSZ_INS6_IJiNST_IiLi64EEEEEELb0EEES1I_EEENS6_IJS14_S15_S16_S18_S17_EEENS6_IJS1A_S18_S17_S1B_NSG_IJLi7ELi8EEEEEEENSG_IJLi5ELi6ELi7ELi8EEEElEES1O_EEES1O_NS_31BlockToCTileMap_M00_N0_M01AdaptILi64ELi64ENSQ_INS6_IJSW_SY_SY_EEENS6_IJS14_S15_S16_EEENS6_IJS1A_S18_S17_EEENSG_IJLi3ELi4EEEElEEiEELb1ELi2EEEvPKT0_PKT1_T2_PT3_T4_T5_T6_T7_T8_T9_T10_T11_.has_dyn_sized_stack, 0
	.set _ZN2ck51kernel_gemm_multiple_d_xdl_cshuffle_lds_direct_loadINS_48GridwiseGemmMultipleD_Xdl_CShuffle_LdsDirectLoadINS_13tensor_layout4gemm8RowMajorENS3_11ColumnMajorENS_5TupleIJS4_S4_EEES4_fffffNS6_IJffEEEfNS_16tensor_operation12element_wise11PassThroughESB_NSA_14AddAddFastGeluELNS_25InMemoryDataOperationEnumE0ELNS9_6device18GemmSpecializationE0ELi1ELi64ELi64ELi64ELi64ELi8ELi8ELi32ELi32ELi2ELi2ENS_8SequenceIJLi8ELi1ELi8EEEENSG_IJLi1ELi0ELi2EEEELi2ELi1ELi0ESH_SI_Li2ELi1ELi0ELi1ELi1ENSG_IJLi1ELi8ELi1ELi8EEEELi4ELNS_13LoopSchedulerE0ELNS_15PipelineVersionE2EfEEffNS6_IJPKfSO_EEEfSB_SB_SC_NS_16TensorDescriptorINS6_IJNS_5EmbedINS6_IJiiEEENS6_IJiNS_17integral_constantIiLi1EEEEEELb0EEENS_11PassThroughIiEESY_NS_7UnMergeINS6_IJiNST_IiLi8EEEEEELb0EEESY_EEENS6_IJNSG_IJLi0EEEENSG_IJLi1EEEENSG_IJLi2EEEENSG_IJLi4EEEENSG_IJLi3EEEEEEENS6_IJNSG_IJLi1ELi2EEEES18_S17_NSG_IJLi5ELi6EEEENSG_IJLi7EEEEEEENSG_IJLi5ELi7ELi6EEEElEES1F_NS6_IJNSQ_INS6_IJSW_SY_SY_NSZ_INS6_IJiNST_IiLi64EEEEEELb0EEES1I_EEENS6_IJS14_S15_S16_S18_S17_EEENS6_IJS1A_S18_S17_S1B_NSG_IJLi7ELi8EEEEEEENSG_IJLi5ELi6ELi7ELi8EEEElEES1O_EEES1O_NS_31BlockToCTileMap_M00_N0_M01AdaptILi64ELi64ENSQ_INS6_IJSW_SY_SY_EEENS6_IJS14_S15_S16_EEENS6_IJS1A_S18_S17_EEENSG_IJLi3ELi4EEEElEEiEELb1ELi2EEEvPKT0_PKT1_T2_PT3_T4_T5_T6_T7_T8_T9_T10_T11_.has_recursion, 0
	.set _ZN2ck51kernel_gemm_multiple_d_xdl_cshuffle_lds_direct_loadINS_48GridwiseGemmMultipleD_Xdl_CShuffle_LdsDirectLoadINS_13tensor_layout4gemm8RowMajorENS3_11ColumnMajorENS_5TupleIJS4_S4_EEES4_fffffNS6_IJffEEEfNS_16tensor_operation12element_wise11PassThroughESB_NSA_14AddAddFastGeluELNS_25InMemoryDataOperationEnumE0ELNS9_6device18GemmSpecializationE0ELi1ELi64ELi64ELi64ELi64ELi8ELi8ELi32ELi32ELi2ELi2ENS_8SequenceIJLi8ELi1ELi8EEEENSG_IJLi1ELi0ELi2EEEELi2ELi1ELi0ESH_SI_Li2ELi1ELi0ELi1ELi1ENSG_IJLi1ELi8ELi1ELi8EEEELi4ELNS_13LoopSchedulerE0ELNS_15PipelineVersionE2EfEEffNS6_IJPKfSO_EEEfSB_SB_SC_NS_16TensorDescriptorINS6_IJNS_5EmbedINS6_IJiiEEENS6_IJiNS_17integral_constantIiLi1EEEEEELb0EEENS_11PassThroughIiEESY_NS_7UnMergeINS6_IJiNST_IiLi8EEEEEELb0EEESY_EEENS6_IJNSG_IJLi0EEEENSG_IJLi1EEEENSG_IJLi2EEEENSG_IJLi4EEEENSG_IJLi3EEEEEEENS6_IJNSG_IJLi1ELi2EEEES18_S17_NSG_IJLi5ELi6EEEENSG_IJLi7EEEEEEENSG_IJLi5ELi7ELi6EEEElEES1F_NS6_IJNSQ_INS6_IJSW_SY_SY_NSZ_INS6_IJiNST_IiLi64EEEEEELb0EEES1I_EEENS6_IJS14_S15_S16_S18_S17_EEENS6_IJS1A_S18_S17_S1B_NSG_IJLi7ELi8EEEEEEENSG_IJLi5ELi6ELi7ELi8EEEElEES1O_EEES1O_NS_31BlockToCTileMap_M00_N0_M01AdaptILi64ELi64ENSQ_INS6_IJSW_SY_SY_EEENS6_IJS14_S15_S16_EEENS6_IJS1A_S18_S17_EEENSG_IJLi3ELi4EEEElEEiEELb1ELi2EEEvPKT0_PKT1_T2_PT3_T4_T5_T6_T7_T8_T9_T10_T11_.has_indirect_call, 0
	.section	.AMDGPU.csdata,"",@progbits
; Kernel info:
; codeLenInByte = 28084
; TotalNumSgprs: 106
; NumVgprs: 249
; NumAgprs: 0
; TotalNumVgprs: 249
; ScratchSize: 0
; MemoryBound: 0
; FloatMode: 240
; IeeeMode: 1
; LDSByteSize: 32768 bytes/workgroup (compile time only)
; SGPRBlocks: 13
; VGPRBlocks: 31
; NumSGPRsForWavesPerEU: 106
; NumVGPRsForWavesPerEU: 249
; AccumOffset: 252
; Occupancy: 2
; WaveLimiterHint : 0
; COMPUTE_PGM_RSRC2:SCRATCH_EN: 0
; COMPUTE_PGM_RSRC2:USER_SGPR: 2
; COMPUTE_PGM_RSRC2:TRAP_HANDLER: 0
; COMPUTE_PGM_RSRC2:TGID_X_EN: 1
; COMPUTE_PGM_RSRC2:TGID_Y_EN: 0
; COMPUTE_PGM_RSRC2:TGID_Z_EN: 0
; COMPUTE_PGM_RSRC2:TIDIG_COMP_CNT: 0
; COMPUTE_PGM_RSRC3_GFX90A:ACCUM_OFFSET: 62
; COMPUTE_PGM_RSRC3_GFX90A:TG_SPLIT: 0
	.section	.text._ZN2ck51kernel_gemm_multiple_d_xdl_cshuffle_lds_direct_loadINS_48GridwiseGemmMultipleD_Xdl_CShuffle_LdsDirectLoadINS_13tensor_layout4gemm8RowMajorENS3_11ColumnMajorENS_5TupleIJS4_S4_EEES4_fffffNS6_IJffEEEfNS_16tensor_operation12element_wise11PassThroughESB_NSA_14AddAddFastGeluELNS_25InMemoryDataOperationEnumE0ELNS9_6device18GemmSpecializationE0ELi1ELi64ELi64ELi64ELi64ELi8ELi8ELi32ELi32ELi2ELi2ENS_8SequenceIJLi8ELi1ELi8EEEENSG_IJLi1ELi0ELi2EEEELi2ELi1ELi0ESH_SI_Li2ELi1ELi0ELi1ELi1ENSG_IJLi1ELi8ELi1ELi8EEEELi4ELNS_13LoopSchedulerE0ELNS_15PipelineVersionE2EfEEffNS6_IJPKfSO_EEEfSB_SB_SC_NS_16TensorDescriptorINS6_IJNS_5EmbedINS6_IJiiEEENS6_IJiNS_17integral_constantIiLi1EEEEEELb0EEENS_11PassThroughIiEESY_NS_7UnMergeINS6_IJiNST_IiLi8EEEEEELb0EEESY_EEENS6_IJNSG_IJLi0EEEENSG_IJLi1EEEENSG_IJLi2EEEENSG_IJLi4EEEENSG_IJLi3EEEEEEENS6_IJNSG_IJLi1ELi2EEEES18_S17_NSG_IJLi5ELi6EEEENSG_IJLi7EEEEEEENSG_IJLi5ELi7ELi6EEEElEES1F_NS6_IJNSQ_INS6_IJSW_SY_SY_NSZ_INS6_IJiNST_IiLi64EEEEEELb0EEES1I_EEENS6_IJS14_S15_S16_S18_S17_EEENS6_IJS1A_S18_S17_S1B_NSG_IJLi7ELi8EEEEEEENSG_IJLi5ELi6ELi7ELi8EEEElEES1O_EEES1O_NS_31BlockToCTileMap_M00_N0_M01AdaptILi64ELi64ENSQ_INS6_IJSW_SY_SY_EEENS6_IJS14_S15_S16_EEENS6_IJS1A_S18_S17_EEENSG_IJLi3ELi4EEEElEEiEELb0ELi2EEEvPKT0_PKT1_T2_PT3_T4_T5_T6_T7_T8_T9_T10_T11_,"axG",@progbits,_ZN2ck51kernel_gemm_multiple_d_xdl_cshuffle_lds_direct_loadINS_48GridwiseGemmMultipleD_Xdl_CShuffle_LdsDirectLoadINS_13tensor_layout4gemm8RowMajorENS3_11ColumnMajorENS_5TupleIJS4_S4_EEES4_fffffNS6_IJffEEEfNS_16tensor_operation12element_wise11PassThroughESB_NSA_14AddAddFastGeluELNS_25InMemoryDataOperationEnumE0ELNS9_6device18GemmSpecializationE0ELi1ELi64ELi64ELi64ELi64ELi8ELi8ELi32ELi32ELi2ELi2ENS_8SequenceIJLi8ELi1ELi8EEEENSG_IJLi1ELi0ELi2EEEELi2ELi1ELi0ESH_SI_Li2ELi1ELi0ELi1ELi1ENSG_IJLi1ELi8ELi1ELi8EEEELi4ELNS_13LoopSchedulerE0ELNS_15PipelineVersionE2EfEEffNS6_IJPKfSO_EEEfSB_SB_SC_NS_16TensorDescriptorINS6_IJNS_5EmbedINS6_IJiiEEENS6_IJiNS_17integral_constantIiLi1EEEEEELb0EEENS_11PassThroughIiEESY_NS_7UnMergeINS6_IJiNST_IiLi8EEEEEELb0EEESY_EEENS6_IJNSG_IJLi0EEEENSG_IJLi1EEEENSG_IJLi2EEEENSG_IJLi4EEEENSG_IJLi3EEEEEEENS6_IJNSG_IJLi1ELi2EEEES18_S17_NSG_IJLi5ELi6EEEENSG_IJLi7EEEEEEENSG_IJLi5ELi7ELi6EEEElEES1F_NS6_IJNSQ_INS6_IJSW_SY_SY_NSZ_INS6_IJiNST_IiLi64EEEEEELb0EEES1I_EEENS6_IJS14_S15_S16_S18_S17_EEENS6_IJS1A_S18_S17_S1B_NSG_IJLi7ELi8EEEEEEENSG_IJLi5ELi6ELi7ELi8EEEElEES1O_EEES1O_NS_31BlockToCTileMap_M00_N0_M01AdaptILi64ELi64ENSQ_INS6_IJSW_SY_SY_EEENS6_IJS14_S15_S16_EEENS6_IJS1A_S18_S17_EEENSG_IJLi3ELi4EEEElEEiEELb0ELi2EEEvPKT0_PKT1_T2_PT3_T4_T5_T6_T7_T8_T9_T10_T11_,comdat
	.protected	_ZN2ck51kernel_gemm_multiple_d_xdl_cshuffle_lds_direct_loadINS_48GridwiseGemmMultipleD_Xdl_CShuffle_LdsDirectLoadINS_13tensor_layout4gemm8RowMajorENS3_11ColumnMajorENS_5TupleIJS4_S4_EEES4_fffffNS6_IJffEEEfNS_16tensor_operation12element_wise11PassThroughESB_NSA_14AddAddFastGeluELNS_25InMemoryDataOperationEnumE0ELNS9_6device18GemmSpecializationE0ELi1ELi64ELi64ELi64ELi64ELi8ELi8ELi32ELi32ELi2ELi2ENS_8SequenceIJLi8ELi1ELi8EEEENSG_IJLi1ELi0ELi2EEEELi2ELi1ELi0ESH_SI_Li2ELi1ELi0ELi1ELi1ENSG_IJLi1ELi8ELi1ELi8EEEELi4ELNS_13LoopSchedulerE0ELNS_15PipelineVersionE2EfEEffNS6_IJPKfSO_EEEfSB_SB_SC_NS_16TensorDescriptorINS6_IJNS_5EmbedINS6_IJiiEEENS6_IJiNS_17integral_constantIiLi1EEEEEELb0EEENS_11PassThroughIiEESY_NS_7UnMergeINS6_IJiNST_IiLi8EEEEEELb0EEESY_EEENS6_IJNSG_IJLi0EEEENSG_IJLi1EEEENSG_IJLi2EEEENSG_IJLi4EEEENSG_IJLi3EEEEEEENS6_IJNSG_IJLi1ELi2EEEES18_S17_NSG_IJLi5ELi6EEEENSG_IJLi7EEEEEEENSG_IJLi5ELi7ELi6EEEElEES1F_NS6_IJNSQ_INS6_IJSW_SY_SY_NSZ_INS6_IJiNST_IiLi64EEEEEELb0EEES1I_EEENS6_IJS14_S15_S16_S18_S17_EEENS6_IJS1A_S18_S17_S1B_NSG_IJLi7ELi8EEEEEEENSG_IJLi5ELi6ELi7ELi8EEEElEES1O_EEES1O_NS_31BlockToCTileMap_M00_N0_M01AdaptILi64ELi64ENSQ_INS6_IJSW_SY_SY_EEENS6_IJS14_S15_S16_EEENS6_IJS1A_S18_S17_EEENSG_IJLi3ELi4EEEElEEiEELb0ELi2EEEvPKT0_PKT1_T2_PT3_T4_T5_T6_T7_T8_T9_T10_T11_ ; -- Begin function _ZN2ck51kernel_gemm_multiple_d_xdl_cshuffle_lds_direct_loadINS_48GridwiseGemmMultipleD_Xdl_CShuffle_LdsDirectLoadINS_13tensor_layout4gemm8RowMajorENS3_11ColumnMajorENS_5TupleIJS4_S4_EEES4_fffffNS6_IJffEEEfNS_16tensor_operation12element_wise11PassThroughESB_NSA_14AddAddFastGeluELNS_25InMemoryDataOperationEnumE0ELNS9_6device18GemmSpecializationE0ELi1ELi64ELi64ELi64ELi64ELi8ELi8ELi32ELi32ELi2ELi2ENS_8SequenceIJLi8ELi1ELi8EEEENSG_IJLi1ELi0ELi2EEEELi2ELi1ELi0ESH_SI_Li2ELi1ELi0ELi1ELi1ENSG_IJLi1ELi8ELi1ELi8EEEELi4ELNS_13LoopSchedulerE0ELNS_15PipelineVersionE2EfEEffNS6_IJPKfSO_EEEfSB_SB_SC_NS_16TensorDescriptorINS6_IJNS_5EmbedINS6_IJiiEEENS6_IJiNS_17integral_constantIiLi1EEEEEELb0EEENS_11PassThroughIiEESY_NS_7UnMergeINS6_IJiNST_IiLi8EEEEEELb0EEESY_EEENS6_IJNSG_IJLi0EEEENSG_IJLi1EEEENSG_IJLi2EEEENSG_IJLi4EEEENSG_IJLi3EEEEEEENS6_IJNSG_IJLi1ELi2EEEES18_S17_NSG_IJLi5ELi6EEEENSG_IJLi7EEEEEEENSG_IJLi5ELi7ELi6EEEElEES1F_NS6_IJNSQ_INS6_IJSW_SY_SY_NSZ_INS6_IJiNST_IiLi64EEEEEELb0EEES1I_EEENS6_IJS14_S15_S16_S18_S17_EEENS6_IJS1A_S18_S17_S1B_NSG_IJLi7ELi8EEEEEEENSG_IJLi5ELi6ELi7ELi8EEEElEES1O_EEES1O_NS_31BlockToCTileMap_M00_N0_M01AdaptILi64ELi64ENSQ_INS6_IJSW_SY_SY_EEENS6_IJS14_S15_S16_EEENS6_IJS1A_S18_S17_EEENSG_IJLi3ELi4EEEElEEiEELb0ELi2EEEvPKT0_PKT1_T2_PT3_T4_T5_T6_T7_T8_T9_T10_T11_
	.globl	_ZN2ck51kernel_gemm_multiple_d_xdl_cshuffle_lds_direct_loadINS_48GridwiseGemmMultipleD_Xdl_CShuffle_LdsDirectLoadINS_13tensor_layout4gemm8RowMajorENS3_11ColumnMajorENS_5TupleIJS4_S4_EEES4_fffffNS6_IJffEEEfNS_16tensor_operation12element_wise11PassThroughESB_NSA_14AddAddFastGeluELNS_25InMemoryDataOperationEnumE0ELNS9_6device18GemmSpecializationE0ELi1ELi64ELi64ELi64ELi64ELi8ELi8ELi32ELi32ELi2ELi2ENS_8SequenceIJLi8ELi1ELi8EEEENSG_IJLi1ELi0ELi2EEEELi2ELi1ELi0ESH_SI_Li2ELi1ELi0ELi1ELi1ENSG_IJLi1ELi8ELi1ELi8EEEELi4ELNS_13LoopSchedulerE0ELNS_15PipelineVersionE2EfEEffNS6_IJPKfSO_EEEfSB_SB_SC_NS_16TensorDescriptorINS6_IJNS_5EmbedINS6_IJiiEEENS6_IJiNS_17integral_constantIiLi1EEEEEELb0EEENS_11PassThroughIiEESY_NS_7UnMergeINS6_IJiNST_IiLi8EEEEEELb0EEESY_EEENS6_IJNSG_IJLi0EEEENSG_IJLi1EEEENSG_IJLi2EEEENSG_IJLi4EEEENSG_IJLi3EEEEEEENS6_IJNSG_IJLi1ELi2EEEES18_S17_NSG_IJLi5ELi6EEEENSG_IJLi7EEEEEEENSG_IJLi5ELi7ELi6EEEElEES1F_NS6_IJNSQ_INS6_IJSW_SY_SY_NSZ_INS6_IJiNST_IiLi64EEEEEELb0EEES1I_EEENS6_IJS14_S15_S16_S18_S17_EEENS6_IJS1A_S18_S17_S1B_NSG_IJLi7ELi8EEEEEEENSG_IJLi5ELi6ELi7ELi8EEEElEES1O_EEES1O_NS_31BlockToCTileMap_M00_N0_M01AdaptILi64ELi64ENSQ_INS6_IJSW_SY_SY_EEENS6_IJS14_S15_S16_EEENS6_IJS1A_S18_S17_EEENSG_IJLi3ELi4EEEElEEiEELb0ELi2EEEvPKT0_PKT1_T2_PT3_T4_T5_T6_T7_T8_T9_T10_T11_
	.p2align	8
	.type	_ZN2ck51kernel_gemm_multiple_d_xdl_cshuffle_lds_direct_loadINS_48GridwiseGemmMultipleD_Xdl_CShuffle_LdsDirectLoadINS_13tensor_layout4gemm8RowMajorENS3_11ColumnMajorENS_5TupleIJS4_S4_EEES4_fffffNS6_IJffEEEfNS_16tensor_operation12element_wise11PassThroughESB_NSA_14AddAddFastGeluELNS_25InMemoryDataOperationEnumE0ELNS9_6device18GemmSpecializationE0ELi1ELi64ELi64ELi64ELi64ELi8ELi8ELi32ELi32ELi2ELi2ENS_8SequenceIJLi8ELi1ELi8EEEENSG_IJLi1ELi0ELi2EEEELi2ELi1ELi0ESH_SI_Li2ELi1ELi0ELi1ELi1ENSG_IJLi1ELi8ELi1ELi8EEEELi4ELNS_13LoopSchedulerE0ELNS_15PipelineVersionE2EfEEffNS6_IJPKfSO_EEEfSB_SB_SC_NS_16TensorDescriptorINS6_IJNS_5EmbedINS6_IJiiEEENS6_IJiNS_17integral_constantIiLi1EEEEEELb0EEENS_11PassThroughIiEESY_NS_7UnMergeINS6_IJiNST_IiLi8EEEEEELb0EEESY_EEENS6_IJNSG_IJLi0EEEENSG_IJLi1EEEENSG_IJLi2EEEENSG_IJLi4EEEENSG_IJLi3EEEEEEENS6_IJNSG_IJLi1ELi2EEEES18_S17_NSG_IJLi5ELi6EEEENSG_IJLi7EEEEEEENSG_IJLi5ELi7ELi6EEEElEES1F_NS6_IJNSQ_INS6_IJSW_SY_SY_NSZ_INS6_IJiNST_IiLi64EEEEEELb0EEES1I_EEENS6_IJS14_S15_S16_S18_S17_EEENS6_IJS1A_S18_S17_S1B_NSG_IJLi7ELi8EEEEEEENSG_IJLi5ELi6ELi7ELi8EEEElEES1O_EEES1O_NS_31BlockToCTileMap_M00_N0_M01AdaptILi64ELi64ENSQ_INS6_IJSW_SY_SY_EEENS6_IJS14_S15_S16_EEENS6_IJS1A_S18_S17_EEENSG_IJLi3ELi4EEEElEEiEELb0ELi2EEEvPKT0_PKT1_T2_PT3_T4_T5_T6_T7_T8_T9_T10_T11_,@function
_ZN2ck51kernel_gemm_multiple_d_xdl_cshuffle_lds_direct_loadINS_48GridwiseGemmMultipleD_Xdl_CShuffle_LdsDirectLoadINS_13tensor_layout4gemm8RowMajorENS3_11ColumnMajorENS_5TupleIJS4_S4_EEES4_fffffNS6_IJffEEEfNS_16tensor_operation12element_wise11PassThroughESB_NSA_14AddAddFastGeluELNS_25InMemoryDataOperationEnumE0ELNS9_6device18GemmSpecializationE0ELi1ELi64ELi64ELi64ELi64ELi8ELi8ELi32ELi32ELi2ELi2ENS_8SequenceIJLi8ELi1ELi8EEEENSG_IJLi1ELi0ELi2EEEELi2ELi1ELi0ESH_SI_Li2ELi1ELi0ELi1ELi1ENSG_IJLi1ELi8ELi1ELi8EEEELi4ELNS_13LoopSchedulerE0ELNS_15PipelineVersionE2EfEEffNS6_IJPKfSO_EEEfSB_SB_SC_NS_16TensorDescriptorINS6_IJNS_5EmbedINS6_IJiiEEENS6_IJiNS_17integral_constantIiLi1EEEEEELb0EEENS_11PassThroughIiEESY_NS_7UnMergeINS6_IJiNST_IiLi8EEEEEELb0EEESY_EEENS6_IJNSG_IJLi0EEEENSG_IJLi1EEEENSG_IJLi2EEEENSG_IJLi4EEEENSG_IJLi3EEEEEEENS6_IJNSG_IJLi1ELi2EEEES18_S17_NSG_IJLi5ELi6EEEENSG_IJLi7EEEEEEENSG_IJLi5ELi7ELi6EEEElEES1F_NS6_IJNSQ_INS6_IJSW_SY_SY_NSZ_INS6_IJiNST_IiLi64EEEEEELb0EEES1I_EEENS6_IJS14_S15_S16_S18_S17_EEENS6_IJS1A_S18_S17_S1B_NSG_IJLi7ELi8EEEEEEENSG_IJLi5ELi6ELi7ELi8EEEElEES1O_EEES1O_NS_31BlockToCTileMap_M00_N0_M01AdaptILi64ELi64ENSQ_INS6_IJSW_SY_SY_EEENS6_IJS14_S15_S16_EEENS6_IJS1A_S18_S17_EEENSG_IJLi3ELi4EEEElEEiEELb0ELi2EEEvPKT0_PKT1_T2_PT3_T4_T5_T6_T7_T8_T9_T10_T11_: ; @_ZN2ck51kernel_gemm_multiple_d_xdl_cshuffle_lds_direct_loadINS_48GridwiseGemmMultipleD_Xdl_CShuffle_LdsDirectLoadINS_13tensor_layout4gemm8RowMajorENS3_11ColumnMajorENS_5TupleIJS4_S4_EEES4_fffffNS6_IJffEEEfNS_16tensor_operation12element_wise11PassThroughESB_NSA_14AddAddFastGeluELNS_25InMemoryDataOperationEnumE0ELNS9_6device18GemmSpecializationE0ELi1ELi64ELi64ELi64ELi64ELi8ELi8ELi32ELi32ELi2ELi2ENS_8SequenceIJLi8ELi1ELi8EEEENSG_IJLi1ELi0ELi2EEEELi2ELi1ELi0ESH_SI_Li2ELi1ELi0ELi1ELi1ENSG_IJLi1ELi8ELi1ELi8EEEELi4ELNS_13LoopSchedulerE0ELNS_15PipelineVersionE2EfEEffNS6_IJPKfSO_EEEfSB_SB_SC_NS_16TensorDescriptorINS6_IJNS_5EmbedINS6_IJiiEEENS6_IJiNS_17integral_constantIiLi1EEEEEELb0EEENS_11PassThroughIiEESY_NS_7UnMergeINS6_IJiNST_IiLi8EEEEEELb0EEESY_EEENS6_IJNSG_IJLi0EEEENSG_IJLi1EEEENSG_IJLi2EEEENSG_IJLi4EEEENSG_IJLi3EEEEEEENS6_IJNSG_IJLi1ELi2EEEES18_S17_NSG_IJLi5ELi6EEEENSG_IJLi7EEEEEEENSG_IJLi5ELi7ELi6EEEElEES1F_NS6_IJNSQ_INS6_IJSW_SY_SY_NSZ_INS6_IJiNST_IiLi64EEEEEELb0EEES1I_EEENS6_IJS14_S15_S16_S18_S17_EEENS6_IJS1A_S18_S17_S1B_NSG_IJLi7ELi8EEEEEEENSG_IJLi5ELi6ELi7ELi8EEEElEES1O_EEES1O_NS_31BlockToCTileMap_M00_N0_M01AdaptILi64ELi64ENSQ_INS6_IJSW_SY_SY_EEENS6_IJS14_S15_S16_EEENS6_IJS1A_S18_S17_EEENSG_IJLi3ELi4EEEElEEiEELb0ELi2EEEvPKT0_PKT1_T2_PT3_T4_T5_T6_T7_T8_T9_T10_T11_
; %bb.0:
	s_load_dwordx2 s[4:5], s[0:1], 0x160
	s_load_dword s14, s[0:1], 0x168
	v_and_b32_e32 v2, 32, v0
	v_lshlrev_b32_e32 v2, 2, v2
	v_lshrrev_b32_e32 v15, 1, v0
	s_waitcnt lgkmcnt(0)
	s_add_i32 s4, s4, 63
	s_add_i32 s3, s5, 63
	s_ashr_i32 s5, s4, 31
	s_ashr_i32 s6, s3, 31
	s_lshr_b32 s5, s5, 26
	s_add_i32 s12, s4, s5
	s_lshr_b32 s4, s6, 26
	s_add_i32 s3, s3, s4
	s_ashr_i32 s13, s12, 6
	s_ashr_i32 s3, s3, 6
	s_mul_i32 s4, s3, s13
	s_abs_i32 s4, s4
	v_cvt_f32_u32_e32 v1, s4
	s_sub_i32 s6, 0, s4
	s_ashr_i32 s5, s2, 31
	s_abs_i32 s2, s2
	v_rcp_iflag_f32_e32 v1, v1
	v_and_b32_e32 v15, 28, v15
	v_mul_f32_e32 v1, 0x4f7ffffe, v1
	v_cvt_u32_f32_e32 v1, v1
	s_nop 0
	v_readfirstlane_b32 s7, v1
	s_mul_i32 s6, s6, s7
	s_mul_hi_u32 s6, s7, s6
	s_add_i32 s7, s7, s6
	s_mul_hi_u32 s6, s2, s7
	s_mul_i32 s6, s6, s4
	s_sub_i32 s2, s2, s6
	s_sub_i32 s6, s2, s4
	s_cmp_ge_u32 s2, s4
	s_cselect_b32 s2, s6, s2
	s_sub_i32 s6, s2, s4
	s_cmp_ge_u32 s2, s4
	s_cselect_b32 s2, s6, s2
	s_abs_i32 s4, s3
	v_cvt_f32_u32_e32 v1, s4
	s_xor_b32 s2, s2, s5
	s_sub_i32 s2, s2, s5
	s_xor_b32 s5, s2, s3
	v_rcp_iflag_f32_e32 v1, v1
	s_sub_i32 s6, 0, s4
	s_ashr_i32 s15, s5, 31
	s_abs_i32 s7, s2
	v_mul_f32_e32 v1, 0x4f7ffffe, v1
	v_cvt_u32_f32_e32 v1, v1
	s_nop 0
	v_readfirstlane_b32 s5, v1
	s_mul_i32 s6, s6, s5
	s_mul_hi_u32 s6, s5, s6
	s_add_i32 s5, s5, s6
	s_mul_hi_u32 s5, s7, s5
	s_mul_i32 s6, s5, s4
	s_sub_i32 s6, s7, s6
	s_add_i32 s8, s5, 1
	s_sub_i32 s7, s6, s4
	s_cmp_ge_u32 s6, s4
	s_cselect_b32 s5, s8, s5
	s_cselect_b32 s6, s7, s6
	s_add_i32 s7, s5, 1
	s_cmp_ge_u32 s6, s4
	s_cselect_b32 s16, s7, s5
	s_abs_i32 s17, s14
	v_cvt_f32_u32_e32 v1, s17
	s_sub_i32 s19, 0, s17
	s_abs_i32 s18, s13
	s_xor_b32 s16, s16, s15
	v_rcp_iflag_f32_e32 v1, v1
	s_ashr_i32 s12, s12, 31
	s_sub_i32 s15, s16, s15
	s_mul_i32 s16, s15, s3
	v_mul_f32_e32 v1, 0x4f7ffffe, v1
	v_cvt_u32_f32_e32 v1, v1
	s_load_dwordx8 s[4:11], s[0:1], 0x0
	v_readfirstlane_b32 s20, v1
	s_mul_i32 s19, s19, s20
	s_mul_hi_u32 s19, s20, s19
	s_add_i32 s20, s20, s19
	s_mul_hi_u32 s19, s18, s20
	s_mul_i32 s19, s19, s17
	s_sub_i32 s18, s18, s19
	s_sub_i32 s19, s18, s17
	s_cmp_ge_u32 s18, s17
	s_cselect_b32 s18, s19, s18
	s_sub_i32 s19, s18, s17
	s_cmp_ge_u32 s18, s17
	s_cselect_b32 s18, s19, s18
	s_xor_b32 s18, s18, s12
	s_sub_i32 s12, s18, s12
	s_sub_i32 s13, s13, s12
	s_cmp_lt_i32 s15, s13
	s_cselect_b32 s12, s14, s12
	s_sub_i32 s13, s2, s16
	s_abs_i32 s2, s15
	s_mul_hi_u32 s16, s2, s20
	s_mul_i32 s16, s16, s17
	s_sub_i32 s2, s2, s16
	s_ashr_i32 s14, s15, 31
	s_sub_i32 s16, s2, s17
	s_cmp_ge_u32 s2, s17
	s_cselect_b32 s2, s16, s2
	s_sub_i32 s16, s2, s17
	s_cmp_ge_u32 s2, s17
	s_cselect_b32 s19, s16, s2
	s_abs_i32 s22, s12
	v_cvt_f32_u32_e32 v1, s22
	s_xor_b32 s19, s19, s14
	s_sub_i32 s14, s19, s14
	s_sub_i32 s24, 0, s22
	v_rcp_iflag_f32_e32 v1, v1
	s_mul_i32 s3, s14, s3
	s_add_i32 s13, s3, s13
	s_abs_i32 s19, s13
	v_mul_f32_e32 v1, 0x4f7ffffe, v1
	v_cvt_u32_f32_e32 v1, v1
	s_xor_b32 s3, s13, s12
	s_ashr_i32 s3, s3, 31
	s_load_dword s21, s[0:1], 0x38
	s_load_dword s23, s[0:1], 0x60
	;; [unrolled: 1-line block ×7, first 2 shown]
	v_readfirstlane_b32 s25, v1
	s_mul_i32 s24, s24, s25
	s_mul_hi_u32 s24, s25, s24
	s_add_i32 s25, s25, s24
	s_mul_hi_u32 s24, s19, s25
	s_mul_i32 s25, s24, s22
	s_sub_i32 s19, s19, s25
	s_add_i32 s25, s24, 1
	s_sub_i32 s26, s19, s22
	s_cmp_ge_u32 s19, s22
	s_cselect_b32 s24, s25, s24
	s_cselect_b32 s19, s26, s19
	s_add_i32 s25, s24, 1
	s_cmp_ge_u32 s19, s22
	s_cselect_b32 s19, s25, s24
	s_xor_b32 s19, s19, s3
	s_sub_i32 s3, s19, s3
	s_mul_i32 s12, s3, s12
	s_sub_i32 s12, s13, s12
	s_sub_i32 s19, s15, s14
	s_add_i32 s19, s19, s12
	s_waitcnt lgkmcnt(0)
	s_mul_i32 s12, s19, s21
	v_lshl_or_b32 v3, s12, 6, v0
	s_mul_i32 s12, s3, s18
	v_lshl_or_b32 v4, s12, 6, v0
	v_readfirstlane_b32 s12, v0
	s_and_b32 s22, s12, 0x3c0
	s_mov_b32 s12, s4
	s_lshl_b32 s4, s22, 2
	s_lshl_b32 s14, s23, 2
	s_mov_b32 s15, 0x20000
	s_mov_b32 s13, s5
	v_lshlrev_b32_e32 v5, 2, v3
	s_mov_b32 m0, s4
	v_add_u32_e32 v3, s21, v3
	buffer_load_dword v5, s[12:15], 0 offen lds
	v_lshlrev_b32_e32 v5, 2, v3
	s_add_i32 m0, s4, 0x100
	v_add_u32_e32 v3, s21, v3
	buffer_load_dword v5, s[12:15], 0 offen lds
	v_lshlrev_b32_e32 v5, 2, v3
	s_add_i32 m0, s4, 0x200
	v_add_u32_e32 v3, s21, v3
	buffer_load_dword v5, s[12:15], 0 offen lds
	v_lshlrev_b32_e32 v5, 2, v3
	s_add_i32 m0, s4, 0x300
	v_add_u32_e32 v3, s21, v3
	buffer_load_dword v5, s[12:15], 0 offen lds
	v_lshlrev_b32_e32 v5, 2, v3
	s_add_i32 m0, s4, 0x400
	v_add_u32_e32 v3, s21, v3
	buffer_load_dword v5, s[12:15], 0 offen lds
	v_lshlrev_b32_e32 v5, 2, v3
	s_add_i32 m0, s4, 0x500
	v_add_u32_e32 v3, s21, v3
	buffer_load_dword v5, s[12:15], 0 offen lds
	v_lshlrev_b32_e32 v5, 2, v3
	s_add_i32 m0, s4, 0x600
	v_add_u32_e32 v3, s21, v3
	buffer_load_dword v5, s[12:15], 0 offen lds
	v_lshlrev_b32_e32 v5, 2, v3
	s_add_i32 m0, s4, 0x700
	v_add_u32_e32 v3, s21, v3
	buffer_load_dword v5, s[12:15], 0 offen lds
	v_lshlrev_b32_e32 v5, 2, v3
	s_add_i32 m0, s4, 0x800
	v_add_u32_e32 v3, s21, v3
	buffer_load_dword v5, s[12:15], 0 offen lds
	v_lshlrev_b32_e32 v5, 2, v3
	s_add_i32 m0, s4, 0x900
	v_add_u32_e32 v3, s21, v3
	buffer_load_dword v5, s[12:15], 0 offen lds
	v_lshlrev_b32_e32 v5, 2, v3
	s_add_i32 m0, s4, 0xa00
	v_add_u32_e32 v3, s21, v3
	buffer_load_dword v5, s[12:15], 0 offen lds
	v_lshlrev_b32_e32 v5, 2, v3
	s_add_i32 m0, s4, 0xb00
	v_add_u32_e32 v3, s21, v3
	buffer_load_dword v5, s[12:15], 0 offen lds
	v_lshlrev_b32_e32 v5, 2, v3
	s_add_i32 m0, s4, 0xc00
	v_add_u32_e32 v3, s21, v3
	buffer_load_dword v5, s[12:15], 0 offen lds
	v_lshlrev_b32_e32 v5, 2, v3
	s_add_i32 m0, s4, 0xd00
	v_add_u32_e32 v3, s21, v3
	buffer_load_dword v5, s[12:15], 0 offen lds
	v_lshlrev_b32_e32 v5, 2, v3
	s_add_i32 m0, s4, 0xe00
	v_add_u32_e32 v3, s21, v3
	buffer_load_dword v5, s[12:15], 0 offen lds
	v_lshlrev_b32_e32 v5, 2, v3
	s_add_i32 m0, s4, 0xf00
	v_add_u32_e32 v3, s21, v3
	buffer_load_dword v5, s[12:15], 0 offen lds
	v_lshlrev_b32_e32 v5, 2, v3
	s_or_b32 m0, s4, 0x1000
	v_add_u32_e32 v3, s21, v3
	buffer_load_dword v5, s[12:15], 0 offen lds
	v_lshlrev_b32_e32 v5, 2, v3
	s_add_i32 m0, s4, 0x1100
	v_add_u32_e32 v3, s21, v3
	buffer_load_dword v5, s[12:15], 0 offen lds
	v_lshlrev_b32_e32 v5, 2, v3
	s_add_i32 m0, s4, 0x1200
	v_add_u32_e32 v3, s21, v3
	buffer_load_dword v5, s[12:15], 0 offen lds
	v_lshlrev_b32_e32 v5, 2, v3
	s_add_i32 m0, s4, 0x1300
	v_add_u32_e32 v3, s21, v3
	buffer_load_dword v5, s[12:15], 0 offen lds
	v_lshlrev_b32_e32 v5, 2, v3
	s_add_i32 m0, s4, 0x1400
	v_add_u32_e32 v3, s21, v3
	buffer_load_dword v5, s[12:15], 0 offen lds
	v_lshlrev_b32_e32 v5, 2, v3
	s_add_i32 m0, s4, 0x1500
	v_add_u32_e32 v3, s21, v3
	buffer_load_dword v5, s[12:15], 0 offen lds
	v_lshlrev_b32_e32 v5, 2, v3
	s_add_i32 m0, s4, 0x1600
	v_add_u32_e32 v3, s21, v3
	buffer_load_dword v5, s[12:15], 0 offen lds
	v_lshlrev_b32_e32 v5, 2, v3
	s_add_i32 m0, s4, 0x1700
	v_add_u32_e32 v3, s21, v3
	buffer_load_dword v5, s[12:15], 0 offen lds
	v_lshlrev_b32_e32 v5, 2, v3
	s_add_i32 m0, s4, 0x1800
	v_add_u32_e32 v3, s21, v3
	buffer_load_dword v5, s[12:15], 0 offen lds
	v_lshlrev_b32_e32 v5, 2, v3
	s_add_i32 m0, s4, 0x1900
	v_add_u32_e32 v3, s21, v3
	buffer_load_dword v5, s[12:15], 0 offen lds
	v_lshlrev_b32_e32 v5, 2, v3
	s_add_i32 m0, s4, 0x1a00
	v_add_u32_e32 v3, s21, v3
	buffer_load_dword v5, s[12:15], 0 offen lds
	v_lshlrev_b32_e32 v5, 2, v3
	s_add_i32 m0, s4, 0x1b00
	v_add_u32_e32 v3, s21, v3
	buffer_load_dword v5, s[12:15], 0 offen lds
	v_lshlrev_b32_e32 v5, 2, v3
	s_add_i32 m0, s4, 0x1c00
	v_add_u32_e32 v3, s21, v3
	buffer_load_dword v5, s[12:15], 0 offen lds
	v_lshlrev_b32_e32 v5, 2, v3
	s_add_i32 m0, s4, 0x1d00
	v_add_u32_e32 v3, s21, v3
	buffer_load_dword v5, s[12:15], 0 offen lds
	v_lshlrev_b32_e32 v5, 2, v3
	s_add_i32 m0, s4, 0x1e00
	v_add_u32_e32 v3, s21, v3
	buffer_load_dword v5, s[12:15], 0 offen lds
	v_lshlrev_b32_e32 v5, 2, v3
	s_add_i32 m0, s4, 0x1f00
	v_add_u32_e32 v3, s21, v3
	buffer_load_dword v5, s[12:15], 0 offen lds
	v_lshlrev_b32_e32 v5, 2, v3
	s_or_b32 m0, s4, 0x2000
	;; [unrolled: 64-line block ×3, first 2 shown]
	v_add_u32_e32 v3, s21, v3
	buffer_load_dword v5, s[12:15], 0 offen lds
	v_lshlrev_b32_e32 v5, 2, v3
	s_add_i32 m0, s4, 0x3100
	v_add_u32_e32 v3, s21, v3
	buffer_load_dword v5, s[12:15], 0 offen lds
	v_lshlrev_b32_e32 v5, 2, v3
	s_add_i32 m0, s4, 0x3200
	;; [unrolled: 4-line block ×14, first 2 shown]
	v_add_lshl_u32 v3, v3, s21, 2
	buffer_load_dword v5, s[12:15], 0 offen lds
	s_add_i32 m0, s4, 0x3f00
	v_and_b32_e32 v1, 31, v0
	buffer_load_dword v3, s[12:15], 0 offen lds
	s_lshl_b32 s14, s20, 2
	s_mov_b32 s12, s6
	s_mov_b32 s13, s7
	v_lshlrev_b32_e32 v3, 2, v4
	s_or_b32 m0, s4, 0x4000
	v_lshl_or_b32 v14, v1, 8, v2
	buffer_load_dword v3, s[12:15], 0 offen lds
	v_add_u32_e32 v3, s18, v4
	v_lshlrev_b32_e32 v4, 2, v3
	s_add_i32 m0, s4, 0x4100
	v_add_u32_e32 v3, s18, v3
	buffer_load_dword v4, s[12:15], 0 offen lds
	v_lshlrev_b32_e32 v4, 2, v3
	s_add_i32 m0, s4, 0x4200
	v_add_u32_e32 v3, s18, v3
	buffer_load_dword v4, s[12:15], 0 offen lds
	v_lshlrev_b32_e32 v4, 2, v3
	s_add_i32 m0, s4, 0x4300
	v_add_u32_e32 v3, s18, v3
	buffer_load_dword v4, s[12:15], 0 offen lds
	v_lshlrev_b32_e32 v4, 2, v3
	s_add_i32 m0, s4, 0x4400
	v_add_u32_e32 v3, s18, v3
	buffer_load_dword v4, s[12:15], 0 offen lds
	v_lshlrev_b32_e32 v4, 2, v3
	s_add_i32 m0, s4, 0x4500
	v_add_u32_e32 v3, s18, v3
	buffer_load_dword v4, s[12:15], 0 offen lds
	v_lshlrev_b32_e32 v4, 2, v3
	s_add_i32 m0, s4, 0x4600
	v_add_u32_e32 v3, s18, v3
	buffer_load_dword v4, s[12:15], 0 offen lds
	v_lshlrev_b32_e32 v4, 2, v3
	s_add_i32 m0, s4, 0x4700
	v_add_u32_e32 v3, s18, v3
	buffer_load_dword v4, s[12:15], 0 offen lds
	v_lshlrev_b32_e32 v4, 2, v3
	s_add_i32 m0, s4, 0x4800
	v_add_u32_e32 v3, s18, v3
	buffer_load_dword v4, s[12:15], 0 offen lds
	v_lshlrev_b32_e32 v4, 2, v3
	s_add_i32 m0, s4, 0x4900
	v_add_u32_e32 v3, s18, v3
	buffer_load_dword v4, s[12:15], 0 offen lds
	v_lshlrev_b32_e32 v4, 2, v3
	s_add_i32 m0, s4, 0x4a00
	v_add_u32_e32 v3, s18, v3
	buffer_load_dword v4, s[12:15], 0 offen lds
	v_lshlrev_b32_e32 v4, 2, v3
	s_add_i32 m0, s4, 0x4b00
	v_add_u32_e32 v3, s18, v3
	buffer_load_dword v4, s[12:15], 0 offen lds
	v_lshlrev_b32_e32 v4, 2, v3
	s_add_i32 m0, s4, 0x4c00
	v_add_u32_e32 v3, s18, v3
	buffer_load_dword v4, s[12:15], 0 offen lds
	v_lshlrev_b32_e32 v4, 2, v3
	s_add_i32 m0, s4, 0x4d00
	v_add_u32_e32 v3, s18, v3
	buffer_load_dword v4, s[12:15], 0 offen lds
	v_lshlrev_b32_e32 v4, 2, v3
	s_add_i32 m0, s4, 0x4e00
	v_add_u32_e32 v3, s18, v3
	buffer_load_dword v4, s[12:15], 0 offen lds
	v_lshlrev_b32_e32 v4, 2, v3
	s_add_i32 m0, s4, 0x4f00
	v_add_u32_e32 v3, s18, v3
	buffer_load_dword v4, s[12:15], 0 offen lds
	v_lshlrev_b32_e32 v4, 2, v3
	s_or_b32 m0, s4, 0x5000
	v_add_u32_e32 v3, s18, v3
	buffer_load_dword v4, s[12:15], 0 offen lds
	v_lshlrev_b32_e32 v4, 2, v3
	s_add_i32 m0, s4, 0x5100
	v_add_u32_e32 v3, s18, v3
	buffer_load_dword v4, s[12:15], 0 offen lds
	v_lshlrev_b32_e32 v4, 2, v3
	s_add_i32 m0, s4, 0x5200
	v_add_u32_e32 v3, s18, v3
	buffer_load_dword v4, s[12:15], 0 offen lds
	v_lshlrev_b32_e32 v4, 2, v3
	s_add_i32 m0, s4, 0x5300
	v_add_u32_e32 v3, s18, v3
	buffer_load_dword v4, s[12:15], 0 offen lds
	v_lshlrev_b32_e32 v4, 2, v3
	s_add_i32 m0, s4, 0x5400
	v_add_u32_e32 v3, s18, v3
	buffer_load_dword v4, s[12:15], 0 offen lds
	v_lshlrev_b32_e32 v4, 2, v3
	s_add_i32 m0, s4, 0x5500
	v_add_u32_e32 v3, s18, v3
	buffer_load_dword v4, s[12:15], 0 offen lds
	v_lshlrev_b32_e32 v4, 2, v3
	s_add_i32 m0, s4, 0x5600
	v_add_u32_e32 v3, s18, v3
	buffer_load_dword v4, s[12:15], 0 offen lds
	v_lshlrev_b32_e32 v4, 2, v3
	s_add_i32 m0, s4, 0x5700
	v_add_u32_e32 v3, s18, v3
	buffer_load_dword v4, s[12:15], 0 offen lds
	v_lshlrev_b32_e32 v4, 2, v3
	s_add_i32 m0, s4, 0x5800
	v_add_u32_e32 v3, s18, v3
	buffer_load_dword v4, s[12:15], 0 offen lds
	v_lshlrev_b32_e32 v4, 2, v3
	s_add_i32 m0, s4, 0x5900
	v_add_u32_e32 v3, s18, v3
	buffer_load_dword v4, s[12:15], 0 offen lds
	v_lshlrev_b32_e32 v4, 2, v3
	s_add_i32 m0, s4, 0x5a00
	v_add_u32_e32 v3, s18, v3
	buffer_load_dword v4, s[12:15], 0 offen lds
	v_lshlrev_b32_e32 v4, 2, v3
	s_add_i32 m0, s4, 0x5b00
	v_add_u32_e32 v3, s18, v3
	buffer_load_dword v4, s[12:15], 0 offen lds
	v_lshlrev_b32_e32 v4, 2, v3
	s_add_i32 m0, s4, 0x5c00
	v_add_u32_e32 v3, s18, v3
	buffer_load_dword v4, s[12:15], 0 offen lds
	v_lshlrev_b32_e32 v4, 2, v3
	s_add_i32 m0, s4, 0x5d00
	v_add_u32_e32 v3, s18, v3
	buffer_load_dword v4, s[12:15], 0 offen lds
	v_lshlrev_b32_e32 v4, 2, v3
	s_add_i32 m0, s4, 0x5e00
	v_add_u32_e32 v3, s18, v3
	buffer_load_dword v4, s[12:15], 0 offen lds
	v_lshlrev_b32_e32 v4, 2, v3
	s_add_i32 m0, s4, 0x5f00
	v_add_u32_e32 v3, s18, v3
	buffer_load_dword v4, s[12:15], 0 offen lds
	v_lshlrev_b32_e32 v4, 2, v3
	s_or_b32 m0, s4, 0x6000
	v_add_u32_e32 v3, s18, v3
	buffer_load_dword v4, s[12:15], 0 offen lds
	;; [unrolled: 64-line block ×3, first 2 shown]
	v_lshlrev_b32_e32 v4, 2, v3
	s_add_i32 m0, s4, 0x7100
	v_add_u32_e32 v3, s18, v3
	buffer_load_dword v4, s[12:15], 0 offen lds
	v_lshlrev_b32_e32 v4, 2, v3
	s_add_i32 m0, s4, 0x7200
	v_add_u32_e32 v3, s18, v3
	buffer_load_dword v4, s[12:15], 0 offen lds
	;; [unrolled: 4-line block ×13, first 2 shown]
	v_lshlrev_b32_e32 v4, 2, v3
	s_add_i32 m0, s4, 0x7e00
	v_add_lshl_u32 v3, v3, s18, 2
	buffer_load_dword v4, s[12:15], 0 offen lds
	s_add_i32 m0, s4, 0x7f00
	s_movk_i32 s5, 0x200
	buffer_load_dword v3, s[12:15], 0 offen lds
	;;#ASMSTART
	    s_waitcnt vmcnt(0) 
     s_waitcnt lgkmcnt(0) 
     s_barrier     
	;;#ASMEND
	s_waitcnt vmcnt(0)
	ds_read_b128 v[2:5], v14
	ds_read_b128 v[140:143], v14 offset:16384
	ds_read_b128 v[52:55], v14 offset:16
	s_waitcnt lgkmcnt(1)
	v_mfma_f32_32x32x2_f32 v[32:47], v2, v140, 0
	ds_read_b128 v[136:139], v14 offset:16400
	ds_read_b128 v[56:59], v14 offset:32
	ds_read_b128 v[132:135], v14 offset:16416
	ds_read_b128 v[60:63], v14 offset:48
	ds_read_b128 v[128:131], v14 offset:16432
	ds_read_b128 v[144:147], v14 offset:64
	ds_read_b128 v[124:127], v14 offset:16448
	ds_read_b128 v[10:13], v14 offset:80
	ds_read_b128 v[120:123], v14 offset:16464
	ds_read_b128 v[6:9], v14 offset:96
	ds_read_b128 v[112:115], v14 offset:16480
	ds_read_b128 v[104:107], v14 offset:24576
	v_lshlrev_b32_e32 v1, 2, v1
	v_lshl_or_b32 v153, s19, 6, v15
	s_lshl_b32 s14, s2, 2
	s_and_b32 s13, s9, 0xffff
	s_mov_b32 s12, s8
	s_mov_b32 s9, 0xc2ce8ed0
	;; [unrolled: 1-line block ×3, first 2 shown]
	s_mul_i32 s19, s16, -3
	v_mfma_f32_32x32x2_f32 v[32:47], v3, v141, v[32:47]
	v_mfma_f32_32x32x2_f32 v[32:47], v4, v142, v[32:47]
	v_mfma_f32_32x32x2_f32 v[32:47], v5, v143, v[32:47]
	s_waitcnt lgkmcnt(11)
	v_mfma_f32_32x32x2_f32 v[32:47], v52, v136, v[32:47]
	v_mfma_f32_32x32x2_f32 v[32:47], v53, v137, v[32:47]
	v_mfma_f32_32x32x2_f32 v[32:47], v54, v138, v[32:47]
	v_mfma_f32_32x32x2_f32 v[32:47], v55, v139, v[32:47]
	s_waitcnt lgkmcnt(9)
	v_mfma_f32_32x32x2_f32 v[32:47], v56, v132, v[32:47]
	;; [unrolled: 5-line block ×3, first 2 shown]
	s_waitcnt lgkmcnt(0)
	v_mfma_f32_32x32x2_f32 v[16:31], v2, v104, 0
	v_mfma_f32_32x32x2_f32 v[32:47], v61, v129, v[32:47]
	;; [unrolled: 1-line block ×7, first 2 shown]
	ds_read_b128 v[2:5], v14 offset:112
	ds_read_b128 v[48:51], v14 offset:16496
	;; [unrolled: 1-line block ×6, first 2 shown]
	s_load_dword s4, s[0:1], 0x118
	s_load_dword s18, s[0:1], 0x128
	;; [unrolled: 1-line block ×3, first 2 shown]
	ds_read_b128 v[68:71], v14 offset:24656
	s_load_dwordx2 s[0:1], s[0:1], 0x20
	s_waitcnt lgkmcnt(0)
	s_and_b32 s1, s1, 0xffff
	v_mfma_f32_32x32x2_f32 v[32:47], v144, v124, v[32:47]
	v_mfma_f32_32x32x2_f32 v[16:31], v52, v100, v[16:31]
	;; [unrolled: 1-line block ×24, first 2 shown]
	ds_read_b128 v[56:59], v14 offset:24688
	ds_read_b128 v[60:63], v14 offset:24672
	;; [unrolled: 1-line block ×10, first 2 shown]
	v_lshlrev_b32_e32 v14, 2, v0
	v_and_b32_e32 v152, 28, v14
	v_lshlrev_b32_e32 v0, 4, v0
	v_lshl_or_b32 v14, s3, 6, v152
	v_mad_u64_u32 v[148:149], s[6:7], v153, s17, v[14:15]
	v_mad_u64_u32 v[150:151], s[6:7], v153, s16, v[14:15]
	s_waitcnt lgkmcnt(0)
	; wave barrier
	s_lshl_b32 s6, s4, 2
	s_mov_b32 s4, s10
	s_mov_b32 s7, s15
	;; [unrolled: 1-line block ×3, first 2 shown]
	v_mfma_f32_32x32x2_f32 v[32:47], v2, v48, v[32:47]
	v_mfma_f32_32x32x2_f32 v[16:31], v144, v76, v[16:31]
	v_and_or_b32 v144, v0, s5, v1
	v_lshlrev_b32_e32 v0, 2, v148
	s_and_b32 s5, s11, 0xffff
	s_mov_b32 s11, 0x3fb8aa3b
	v_mfma_f32_32x32x2_f32 v[32:47], v3, v49, v[32:47]
	v_mfma_f32_32x32x2_f32 v[16:31], v145, v77, v[16:31]
	v_add_u32_e32 v145, 0x400, v144
	v_mfma_f32_32x32x2_f32 v[32:47], v4, v50, v[32:47]
	v_mfma_f32_32x32x2_f32 v[16:31], v146, v78, v[16:31]
	;; [unrolled: 1-line block ×3, first 2 shown]
	s_nop 15
	s_nop 1
	ds_write2_b32 v144, v32, v33 offset1:32
	ds_write2_b32 v144, v34, v35 offset0:64 offset1:96
	v_mfma_f32_32x32x2_f32 v[16:31], v147, v79, v[16:31]
	ds_write2_b32 v145, v38, v39 offset0:64 offset1:96
	ds_write2_b32 v145, v36, v37 offset1:32
	v_add_u32_e32 v37, 0x800, v144
	v_add_u32_e32 v38, 0xc00, v144
	ds_write2_b32 v37, v40, v41 offset1:32
	ds_write2_b32 v37, v42, v43 offset0:64 offset1:96
	ds_write2_b32 v38, v46, v47 offset0:64 offset1:96
	ds_write2_b32 v38, v44, v45 offset1:32
	s_waitcnt lgkmcnt(0)
	; wave barrier
	buffer_load_dwordx4 v[40:43], v0, s[12:15], 0 offen
	v_lshlrev_b32_e32 v0, 2, v150
	buffer_load_dwordx4 v[44:47], v0, s[4:7], 0 offen
	v_lshlrev_b32_e32 v0, 2, v152
	v_lshl_or_b32 v35, v15, 7, v0
	v_mad_u64_u32 v[0:1], s[2:3], v153, s18, v[14:15]
	v_add_u32_e32 v32, s17, v148
	v_mfma_f32_32x32x2_f32 v[16:31], v10, v68, v[16:31]
	v_add_u32_e32 v34, s16, v150
	v_lshlrev_b32_e32 v1, 2, v32
	v_lshlrev_b32_e32 v10, 2, v34
	ds_read_b128 v[146:149], v35
	ds_read_b128 v[150:153], v35 offset:128
	buffer_load_dwordx4 v[154:157], v1, s[12:15], 0 offen
	buffer_load_dwordx4 v[158:161], v10, s[4:7], 0 offen
	v_mov_b32_e32 v33, 0x7f800000
	v_add_u32_e32 v32, s17, v32
	v_add_u32_e32 v34, s16, v34
	s_waitcnt vmcnt(3) lgkmcnt(1)
	v_add_f32_e64 v14, v146, v40
	v_add_f32_e64 v15, v147, v41
	v_mfma_f32_32x32x2_f32 v[16:31], v11, v69, v[16:31]
	v_add_f32_e64 v10, v148, v42
	v_add_f32_e64 v11, v149, v43
	s_waitcnt vmcnt(2)
	v_add_f32_e64 v14, v14, v44
	v_add_f32_e64 v15, v15, v45
	;; [unrolled: 1-line block ×4, first 2 shown]
	v_mul_f32_e32 v1, 0x3d92220c, v14
	v_mul_f32_e32 v36, 0x3d92220c, v15
	;; [unrolled: 1-line block ×3, first 2 shown]
	v_fma_f32 v1, -v14, v1, s10
	v_mul_f32_e32 v39, 0x3d92220c, v10
	v_fma_f32 v36, -v15, v36, s10
	v_fma_f32 v40, -v11, v40, s10
	v_mul_f32_e32 v1, v14, v1
	v_fma_f32 v39, -v10, v39, s10
	v_mul_f32_e32 v36, v15, v36
	v_mul_f32_e32 v41, v11, v40
	;; [unrolled: 1-line block ×3, first 2 shown]
	v_mfma_f32_32x32x2_f32 v[16:31], v12, v70, v[16:31]
	v_mul_f32_e32 v39, v10, v39
	v_mul_f32_e32 v42, 0x3fb8aa3b, v36
	v_fma_f32 v45, v1, s11, -v40
	v_rndne_f32_e32 v46, v40
	v_mul_f32_e32 v43, 0x3fb8aa3b, v39
	v_fma_f32 v47, v36, s11, -v42
	v_rndne_f32_e32 v146, v42
	v_fmac_f32_e32 v45, 0x32a5705f, v1
	v_sub_f32_e32 v40, v40, v46
	v_mul_f32_e32 v44, 0x3fb8aa3b, v41
	v_fma_f32 v147, v39, s11, -v43
	v_rndne_f32_e32 v148, v43
	v_fmac_f32_e32 v47, 0x32a5705f, v36
	v_sub_f32_e32 v42, v42, v146
	v_add_f32_e32 v40, v40, v45
	v_mfma_f32_32x32x2_f32 v[16:31], v13, v71, v[16:31]
	v_fma_f32 v149, v41, s11, -v44
	v_rndne_f32_e32 v162, v44
	v_cvt_i32_f32_e32 v46, v46
	v_fmac_f32_e32 v147, 0x32a5705f, v39
	v_sub_f32_e32 v43, v43, v148
	v_add_f32_e32 v42, v42, v47
	v_exp_f32_e32 v40, v40
	v_cvt_i32_f32_e32 v146, v146
	v_fmac_f32_e32 v149, 0x32a5705f, v41
	v_sub_f32_e32 v44, v44, v162
	v_add_f32_e32 v43, v43, v147
	v_exp_f32_e32 v42, v42
	v_cvt_i32_f32_e32 v148, v148
	v_add_f32_e32 v44, v44, v149
	v_exp_f32_e32 v43, v43
	v_mfma_f32_32x32x2_f32 v[16:31], v6, v60, v[16:31]
	v_cvt_i32_f32_e32 v162, v162
	v_exp_f32_e32 v12, v44
	v_ldexp_f32 v40, v40, v46
	v_cmp_ngt_f32_e32 vcc, s9, v1
	v_ldexp_f32 v42, v42, v146
	v_ldexp_f32 v43, v43, v148
	v_cndmask_b32_e32 v40, 0, v40, vcc
	v_cmp_ngt_f32_e32 vcc, s9, v36
	v_ldexp_f32 v12, v12, v162
	s_nop 0
	v_cndmask_b32_e32 v42, 0, v42, vcc
	v_cmp_ngt_f32_e32 vcc, s9, v39
	s_nop 1
	v_cndmask_b32_e32 v43, 0, v43, vcc
	v_mfma_f32_32x32x2_f32 v[16:31], v7, v61, v[16:31]
	v_cmp_ngt_f32_e32 vcc, s9, v41
	s_nop 1
	v_cndmask_b32_e32 v44, 0, v12, vcc
	v_cmp_nlt_f32_e32 vcc, s8, v1
	s_nop 1
	v_cndmask_b32_e32 v12, v33, v40, vcc
	v_cmp_nlt_f32_e32 vcc, s8, v39
	;; [unrolled: 3-line block ×3, first 2 shown]
	s_nop 1
	v_cndmask_b32_e32 v41, v33, v44, vcc
	v_add_f32_e64 v40, v40, 1.0
	v_add_f32_e64 v41, v41, 1.0
	v_cmp_nlt_f32_e32 vcc, s8, v36
	v_div_scale_f32 v1, s[2:3], v41, v41, 1.0
	v_rcp_f32_e32 v39, v1
	v_mfma_f32_32x32x2_f32 v[16:31], v8, v62, v[16:31]
	v_cndmask_b32_e32 v13, v33, v42, vcc
	v_add_f32_e64 v12, v12, 1.0
	v_add_f32_e64 v13, v13, 1.0
	v_fma_f32 v36, -v1, v39, 1.0
	v_fmac_f32_e32 v39, v36, v39
	v_div_scale_f32 v36, vcc, 1.0, v41, 1.0
	v_mul_f32_e32 v42, v36, v39
	v_fma_f32 v43, -v1, v42, v36
	v_fmac_f32_e32 v42, v43, v39
	v_fma_f32 v1, -v1, v42, v36
	v_div_scale_f32 v36, s[2:3], v40, v40, 1.0
	v_rcp_f32_e32 v43, v36
	v_div_fmas_f32 v1, v1, v39, v42
	v_div_fixup_f32 v41, v1, v41, 1.0
	v_mfma_f32_32x32x2_f32 v[16:31], v9, v63, v[16:31]
	v_fma_f32 v1, -v36, v43, 1.0
	v_fmac_f32_e32 v43, v1, v43
	v_div_scale_f32 v1, vcc, 1.0, v40, 1.0
	v_mul_f32_e32 v6, v1, v43
	v_fma_f32 v39, -v36, v6, v1
	v_fmac_f32_e32 v6, v39, v43
	v_fma_f32 v1, -v36, v6, v1
	v_div_scale_f32 v36, s[2:3], v13, v13, 1.0
	v_rcp_f32_e32 v39, v36
	v_div_fmas_f32 v1, v1, v43, v6
	v_div_fixup_f32 v40, v1, v40, 1.0
	v_fma_f32 v1, -v36, v39, 1.0
	v_fmac_f32_e32 v39, v1, v39
	v_div_scale_f32 v1, vcc, 1.0, v13, 1.0
	v_mul_f32_e32 v6, v1, v39
	v_fma_f32 v7, -v36, v6, v1
	v_fmac_f32_e32 v6, v7, v39
	v_fma_f32 v1, -v36, v6, v1
	v_div_scale_f32 v36, s[2:3], v12, v12, 1.0
	v_rcp_f32_e32 v42, v36
	v_div_fmas_f32 v1, v1, v39, v6
	v_div_fixup_f32 v7, v1, v13, 1.0
	v_mfma_f32_32x32x2_f32 v[16:31], v2, v56, v[16:31]
	v_fma_f32 v1, -v36, v42, 1.0
	v_fmac_f32_e32 v42, v1, v42
	v_div_scale_f32 v1, vcc, 1.0, v12, 1.0
	v_mul_f32_e32 v6, v1, v42
	v_fma_f32 v8, -v36, v6, v1
	v_fmac_f32_e32 v6, v8, v42
	v_fma_f32 v1, -v36, v6, v1
	v_div_fmas_f32 v1, v1, v42, v6
	v_div_fixup_f32 v6, v1, v12, 1.0
	v_mul_f32_e64 v12, v10, v40
	v_mul_f32_e64 v13, v11, v41
	;; [unrolled: 1-line block ×4, first 2 shown]
	s_waitcnt vmcnt(1) lgkmcnt(0)
	v_pk_add_f32 v[6:7], v[150:151], v[154:155]
	s_lshl_b32 s2, s20, 2
	s_mov_b32 s3, s15
	v_lshlrev_b32_e32 v1, 2, v0
	s_waitcnt vmcnt(0)
	v_pk_add_f32 v[146:147], v[6:7], v[158:159]
	buffer_store_dwordx4 v[10:13], v1, s[0:3], 0 offen
	v_mul_f32_e32 v1, 0x3d92220c, v146
	v_fma_f32 v1, -v146, v1, s10
	v_mul_f32_e32 v6, v146, v1
	v_mul_f32_e32 v1, 0x3fb8aa3b, v6
	v_fma_f32 v7, v6, s11, -v1
	v_rndne_f32_e32 v8, v1
	v_fmac_f32_e32 v7, 0x32a5705f, v6
	v_sub_f32_e32 v1, v1, v8
	v_add_f32_e32 v1, v1, v7
	v_exp_f32_e32 v7, v1
	v_cvt_i32_f32_e32 v8, v8
	v_mfma_f32_32x32x2_f32 v[16:31], v3, v57, v[16:31]
	v_add_u32_e32 v36, s18, v0
	v_add_f32_e64 v0, v152, v156
	v_add_f32_e64 v1, v153, v157
	v_cmp_ngt_f32_e32 vcc, s9, v6
	v_add_f32_e64 v148, v0, v160
	v_add_f32_e64 v149, v1, v161
	v_ldexp_f32 v0, v7, v8
	v_cndmask_b32_e32 v0, 0, v0, vcc
	v_cmp_nlt_f32_e32 vcc, s8, v6
	s_nop 1
	v_cndmask_b32_e32 v150, v33, v0, vcc
	v_mul_f32_e32 v0, 0x3d92220c, v147
	v_fma_f32 v0, -v147, v0, s10
	v_mul_f32_e32 v39, v147, v0
	v_mul_f32_e32 v0, 0x3fb8aa3b, v39
	v_fma_f32 v1, v39, s11, -v0
	v_rndne_f32_e32 v2, v0
	v_fmac_f32_e32 v1, 0x32a5705f, v39
	v_sub_f32_e32 v0, v0, v2
	v_add_f32_e32 v0, v0, v1
	v_cvt_i32_f32_e32 v1, v2
	v_mul_f32_e32 v2, 0x3d92220c, v148
	v_fma_f32 v2, -v148, v2, s10
	v_mul_f32_e32 v2, v148, v2
	v_mul_f32_e32 v3, 0x3fb8aa3b, v2
	v_exp_f32_e32 v0, v0
	v_fma_f32 v6, v2, s11, -v3
	v_rndne_f32_e32 v7, v3
	v_fmac_f32_e32 v6, 0x32a5705f, v2
	v_sub_f32_e32 v3, v3, v7
	v_mfma_f32_32x32x2_f32 v[16:31], v4, v58, v[16:31]
	v_add_f32_e32 v3, v3, v6
	v_exp_f32_e32 v3, v3
	v_cvt_i32_f32_e32 v6, v7
	v_ldexp_f32 v0, v0, v1
	v_mul_f32_e32 v1, 0x3d92220c, v149
	v_fma_f32 v1, -v149, v1, s10
	v_cmp_ngt_f32_e32 vcc, s9, v39
	v_mul_f32_e32 v1, v149, v1
	s_nop 0
	v_cndmask_b32_e32 v151, 0, v0, vcc
	v_ldexp_f32 v0, v3, v6
	v_mul_f32_e32 v3, 0x3fb8aa3b, v1
	v_fma_f32 v4, v1, s11, -v3
	v_rndne_f32_e32 v6, v3
	v_fmac_f32_e32 v4, 0x32a5705f, v1
	v_sub_f32_e32 v3, v3, v6
	v_add_f32_e32 v3, v3, v4
	v_exp_f32_e32 v3, v3
	v_cvt_i32_f32_e32 v4, v6
	v_cmp_ngt_f32_e32 vcc, s9, v2
	v_mfma_f32_32x32x2_f32 v[16:31], v5, v59, v[16:31]
	s_nop 0
	v_cndmask_b32_e32 v0, 0, v0, vcc
	v_cmp_nlt_f32_e32 vcc, s8, v2
	v_lshlrev_b32_e32 v2, 2, v32
	buffer_load_dwordx4 v[40:43], v2, s[12:15], 0 offen
	v_cndmask_b32_e32 v152, v33, v0, vcc
	v_ldexp_f32 v0, v3, v4
	v_cmp_ngt_f32_e32 vcc, s9, v1
	v_lshlrev_b32_e32 v2, 2, v34
	buffer_load_dwordx4 v[44:47], v2, s[4:7], 0 offen
	v_cndmask_b32_e32 v0, 0, v0, vcc
	v_cmp_nlt_f32_e32 vcc, s8, v1
	v_add_u32_e32 v32, s17, v32
	v_add_u32_e32 v34, s16, v34
	v_cndmask_b32_e32 v153, v33, v0, vcc
	v_mfma_f32_32x32x2_f32 v[0:15], v116, v140, 0
	v_add_f32_e64 v152, v152, 1.0
	v_add_f32_e64 v153, v153, 1.0
	v_cmp_nlt_f32_e32 vcc, s8, v39
	v_div_scale_f32 v140, s[20:21], v153, v153, 1.0
	v_rcp_f32_e32 v154, v140
	v_cndmask_b32_e32 v151, v33, v151, vcc
	v_pk_add_f32 v[150:151], v[150:151], 1.0 op_sel_hi:[1,0]
	v_fma_f32 v39, -v140, v154, 1.0
	v_fmac_f32_e32 v154, v39, v154
	v_div_scale_f32 v39, vcc, 1.0, v153, 1.0
	v_mul_f32_e32 v155, v39, v154
	v_fma_f32 v156, -v140, v155, v39
	v_fmac_f32_e32 v155, v156, v154
	v_mfma_f32_32x32x2_f32 v[0:15], v117, v141, v[0:15]
	v_fma_f32 v39, -v140, v155, v39
	v_div_scale_f32 v140, s[20:21], v152, v152, 1.0
	v_rcp_f32_e32 v156, v140
	v_div_fmas_f32 v39, v39, v154, v155
	v_div_fixup_f32 v141, v39, v153, 1.0
	v_fma_f32 v39, -v140, v156, 1.0
	v_fmac_f32_e32 v156, v39, v156
	v_div_scale_f32 v39, vcc, 1.0, v152, 1.0
	v_mul_f32_e32 v153, v39, v156
	v_fma_f32 v154, -v140, v153, v39
	v_fmac_f32_e32 v153, v154, v156
	v_div_scale_f32 v154, s[20:21], v151, v151, 1.0
	v_mfma_f32_32x32x2_f32 v[0:15], v118, v142, v[0:15]
	v_rcp_f32_e32 v142, v154
	v_fma_f32 v39, -v140, v153, v39
	v_div_fmas_f32 v39, v39, v156, v153
	v_div_fixup_f32 v140, v39, v152, 1.0
	v_fma_f32 v39, -v154, v142, 1.0
	v_fmac_f32_e32 v142, v39, v142
	v_div_scale_f32 v39, vcc, 1.0, v151, 1.0
	v_mul_f32_e32 v152, v39, v142
	v_fma_f32 v153, -v154, v152, v39
	v_fmac_f32_e32 v152, v153, v142
	v_div_scale_f32 v153, s[20:21], v150, v150, 1.0
	v_fma_f32 v39, -v154, v152, v39
	v_rcp_f32_e32 v154, v153
	v_mfma_f32_32x32x2_f32 v[0:15], v119, v143, v[0:15]
	v_div_fmas_f32 v39, v39, v142, v152
	v_div_fixup_f32 v151, v39, v151, 1.0
	v_fma_f32 v39, -v153, v154, 1.0
	v_fmac_f32_e32 v154, v39, v154
	v_div_scale_f32 v39, vcc, 1.0, v150, 1.0
	v_mul_f32_e32 v142, v39, v154
	v_fma_f32 v143, -v153, v142, v39
	v_fmac_f32_e32 v142, v143, v154
	v_fma_f32 v39, -v153, v142, v39
	v_div_fmas_f32 v39, v39, v154, v142
	v_div_fixup_f32 v150, v39, v150, 1.0
	v_mul_f32_e64 v142, v148, v140
	v_mul_f32_e64 v143, v149, v141
	v_pk_mul_f32 v[140:141], v[146:147], v[150:151]
	v_lshlrev_b32_e32 v39, 2, v36
	v_mfma_f32_32x32x2_f32 v[0:15], v108, v136, v[0:15]
	buffer_store_dwordx4 v[140:143], v39, s[0:3], 0 offen
	ds_read_b128 v[140:143], v35 offset:256
	ds_read_b128 v[146:149], v35 offset:384
	v_lshlrev_b32_e32 v39, 2, v32
	buffer_load_dwordx4 v[150:153], v39, s[12:15], 0 offen
	v_lshlrev_b32_e32 v39, 2, v34
	s_waitcnt vmcnt(3) lgkmcnt(1)
	v_add_f32_e64 v40, v140, v40
	v_add_f32_e64 v41, v141, v41
	buffer_load_dwordx4 v[154:157], v39, s[4:7], 0 offen
	s_waitcnt vmcnt(3)
	v_add_f32_e64 v40, v40, v44
	v_add_f32_e64 v41, v41, v45
	v_pk_add_f32 v[42:43], v[142:143], v[42:43]
	v_mul_f32_e32 v39, 0x3d92220c, v40
	v_fma_f32 v39, -v40, v39, s10
	v_mul_f32_e32 v39, v40, v39
	v_mul_f32_e32 v44, 0x3fb8aa3b, v39
	v_fma_f32 v45, v39, s11, -v44
	v_mfma_f32_32x32x2_f32 v[0:15], v109, v137, v[0:15]
	v_rndne_f32_e32 v136, v44
	v_fmac_f32_e32 v45, 0x32a5705f, v39
	v_sub_f32_e32 v44, v44, v136
	v_add_f32_e32 v44, v44, v45
	v_exp_f32_e32 v44, v44
	v_cvt_i32_f32_e32 v45, v136
	v_cmp_ngt_f32_e32 vcc, s9, v39
	v_pk_add_f32 v[42:43], v[42:43], v[46:47]
	v_add_u32_e32 v36, s18, v36
	v_ldexp_f32 v44, v44, v45
	v_cndmask_b32_e32 v44, 0, v44, vcc
	v_cmp_nlt_f32_e32 vcc, s8, v39
	v_mul_f32_e32 v39, 0x3d92220c, v41
	v_fma_f32 v39, -v41, v39, s10
	v_mul_f32_e32 v39, v41, v39
	v_mfma_f32_32x32x2_f32 v[0:15], v110, v138, v[0:15]
	v_mul_f32_e32 v45, 0x3fb8aa3b, v39
	v_fma_f32 v46, v39, s11, -v45
	v_rndne_f32_e32 v47, v45
	v_fmac_f32_e32 v46, 0x32a5705f, v39
	v_sub_f32_e32 v45, v45, v47
	v_add_f32_e32 v45, v45, v46
	v_cvt_i32_f32_e32 v46, v47
	v_mul_f32_e32 v47, 0x3d92220c, v42
	v_fma_f32 v47, -v42, v47, s10
	v_mul_f32_e32 v47, v42, v47
	v_mul_f32_e32 v136, 0x3fb8aa3b, v47
	v_fma_f32 v137, v47, s11, -v136
	v_rndne_f32_e32 v138, v136
	v_fmac_f32_e32 v137, 0x32a5705f, v47
	v_sub_f32_e32 v136, v136, v138
	v_mfma_f32_32x32x2_f32 v[0:15], v111, v139, v[0:15]
	v_add_f32_e32 v136, v136, v137
	v_exp_f32_e32 v45, v45
	v_exp_f32_e32 v136, v136
	v_cvt_i32_f32_e32 v137, v138
	v_cndmask_b32_e32 v44, v33, v44, vcc
	v_ldexp_f32 v45, v45, v46
	v_cmp_ngt_f32_e32 vcc, s9, v39
	v_ldexp_f32 v46, v136, v137
	v_mul_f32_e32 v136, 0x3d92220c, v43
	v_fma_f32 v136, -v43, v136, s10
	v_mul_f32_e32 v136, v43, v136
	v_cndmask_b32_e32 v45, 0, v45, vcc
	v_cmp_ngt_f32_e32 vcc, s9, v47
	v_mfma_f32_32x32x2_f32 v[0:15], v96, v132, v[0:15]
	v_mul_f32_e32 v132, 0x3fb8aa3b, v136
	v_fma_f32 v137, v136, s11, -v132
	v_rndne_f32_e32 v138, v132
	v_fmac_f32_e32 v137, 0x32a5705f, v136
	v_sub_f32_e32 v132, v132, v138
	v_add_f32_e32 v132, v132, v137
	v_exp_f32_e32 v132, v132
	v_cvt_i32_f32_e32 v137, v138
	v_cndmask_b32_e32 v46, 0, v46, vcc
	v_cmp_nlt_f32_e32 vcc, s8, v47
	v_ldexp_f32 v47, v132, v137
	s_nop 0
	v_cndmask_b32_e32 v46, v33, v46, vcc
	v_cmp_ngt_f32_e32 vcc, s9, v136
	v_mfma_f32_32x32x2_f32 v[0:15], v97, v133, v[0:15]
	s_nop 0
	v_cndmask_b32_e32 v47, 0, v47, vcc
	v_cmp_nlt_f32_e32 vcc, s8, v136
	s_nop 1
	v_cndmask_b32_e32 v47, v33, v47, vcc
	v_add_f32_e64 v46, v46, 1.0
	v_add_f32_e64 v47, v47, 1.0
	v_cmp_nlt_f32_e32 vcc, s8, v39
	v_div_scale_f32 v132, s[20:21], v47, v47, 1.0
	v_rcp_f32_e32 v133, v132
	v_cndmask_b32_e32 v45, v33, v45, vcc
	v_pk_add_f32 v[44:45], v[44:45], 1.0 op_sel_hi:[1,0]
	v_fma_f32 v39, -v132, v133, 1.0
	v_fmac_f32_e32 v133, v39, v133
	v_mfma_f32_32x32x2_f32 v[0:15], v98, v134, v[0:15]
	v_div_scale_f32 v39, vcc, 1.0, v47, 1.0
	v_mul_f32_e32 v136, v39, v133
	v_fma_f32 v137, -v132, v136, v39
	v_fmac_f32_e32 v136, v137, v133
	v_fma_f32 v39, -v132, v136, v39
	v_div_scale_f32 v132, s[20:21], v46, v46, 1.0
	v_rcp_f32_e32 v134, v132
	v_div_fmas_f32 v39, v39, v133, v136
	v_div_fixup_f32 v47, v39, v47, 1.0
	v_fma_f32 v39, -v132, v134, 1.0
	v_fmac_f32_e32 v134, v39, v134
	v_div_scale_f32 v39, vcc, 1.0, v46, 1.0
	v_mfma_f32_32x32x2_f32 v[0:15], v99, v135, v[0:15]
	v_mul_f32_e32 v133, v39, v134
	v_fma_f32 v136, -v132, v133, v39
	v_fmac_f32_e32 v133, v136, v134
	v_fma_f32 v39, -v132, v133, v39
	v_div_scale_f32 v132, s[20:21], v45, v45, 1.0
	v_rcp_f32_e32 v135, v132
	v_div_fmas_f32 v39, v39, v134, v133
	v_div_fixup_f32 v46, v39, v46, 1.0
	v_pk_mul_f32 v[42:43], v[42:43], v[46:47]
	v_fma_f32 v39, -v132, v135, 1.0
	v_fmac_f32_e32 v135, v39, v135
	v_div_scale_f32 v39, vcc, 1.0, v45, 1.0
	v_mul_f32_e32 v133, v39, v135
	v_mfma_f32_32x32x2_f32 v[0:15], v88, v128, v[0:15]
	v_fma_f32 v134, -v132, v133, v39
	v_fmac_f32_e32 v133, v134, v135
	v_div_scale_f32 v128, s[20:21], v44, v44, 1.0
	v_fma_f32 v39, -v132, v133, v39
	v_rcp_f32_e32 v132, v128
	v_div_fmas_f32 v39, v39, v135, v133
	v_div_fixup_f32 v45, v39, v45, 1.0
	v_fma_f32 v39, -v128, v132, 1.0
	v_fmac_f32_e32 v132, v39, v132
	v_div_scale_f32 v39, vcc, 1.0, v44, 1.0
	v_mul_f32_e32 v133, v39, v132
	v_fma_f32 v134, -v128, v133, v39
	v_mfma_f32_32x32x2_f32 v[0:15], v89, v129, v[0:15]
	v_fmac_f32_e32 v133, v134, v132
	v_fma_f32 v39, -v128, v133, v39
	v_div_fmas_f32 v39, v39, v132, v133
	v_div_fixup_f32 v44, v39, v44, 1.0
	v_mul_f32_e64 v40, v40, v44
	v_mul_f32_e64 v41, v41, v45
	v_lshlrev_b32_e32 v39, 2, v36
	buffer_store_dwordx4 v[40:43], v39, s[0:3], 0 offen
	v_add_u32_e32 v36, s18, v36
	s_waitcnt vmcnt(2) lgkmcnt(0)
	v_add_f32_e64 v40, v146, v150
	v_add_f32_e64 v41, v147, v151
	s_waitcnt vmcnt(1)
	v_pk_add_f32 v[40:41], v[40:41], v[154:155]
	s_nop 0
	v_mul_f32_e32 v39, 0x3d92220c, v40
	v_fma_f32 v39, -v40, v39, s10
	v_mfma_f32_32x32x2_f32 v[0:15], v90, v130, v[0:15]
	v_mul_f32_e32 v39, v40, v39
	v_mul_f32_e32 v42, 0x3fb8aa3b, v39
	v_fma_f32 v43, v39, s11, -v42
	v_rndne_f32_e32 v44, v42
	v_fmac_f32_e32 v43, 0x32a5705f, v39
	v_sub_f32_e32 v42, v42, v44
	v_add_f32_e32 v42, v42, v43
	v_exp_f32_e32 v45, v42
	v_cvt_i32_f32_e32 v44, v44
	v_cmp_ngt_f32_e32 vcc, s9, v39
	v_pk_add_f32 v[42:43], v[148:149], v[152:153]
	v_ldexp_f32 v44, v45, v44
	v_cndmask_b32_e32 v44, 0, v44, vcc
	v_cmp_nlt_f32_e32 vcc, s8, v39
	v_mfma_f32_32x32x2_f32 v[0:15], v91, v131, v[0:15]
	v_mul_f32_e32 v39, 0x3d92220c, v41
	v_fma_f32 v39, -v41, v39, s10
	v_mul_f32_e32 v39, v41, v39
	v_mul_f32_e32 v45, 0x3fb8aa3b, v39
	v_fma_f32 v46, v39, s11, -v45
	v_rndne_f32_e32 v47, v45
	v_add_f32_e64 v42, v42, v156
	v_add_f32_e64 v43, v43, v157
	v_fmac_f32_e32 v46, 0x32a5705f, v39
	v_sub_f32_e32 v45, v45, v47
	v_add_f32_e32 v45, v45, v46
	v_cvt_i32_f32_e32 v46, v47
	v_mul_f32_e32 v47, 0x3d92220c, v42
	v_fma_f32 v47, -v42, v47, s10
	v_mul_f32_e32 v47, v42, v47
	v_mul_f32_e32 v128, 0x3fb8aa3b, v47
	v_mfma_f32_32x32x2_f32 v[0:15], v80, v124, v[0:15]
	v_fma_f32 v129, v47, s11, -v128
	v_rndne_f32_e32 v130, v128
	v_fmac_f32_e32 v129, 0x32a5705f, v47
	v_sub_f32_e32 v128, v128, v130
	v_add_f32_e32 v124, v128, v129
	v_exp_f32_e32 v45, v45
	v_exp_f32_e32 v124, v124
	v_cvt_i32_f32_e32 v128, v130
	v_cndmask_b32_e32 v44, v33, v44, vcc
	v_ldexp_f32 v45, v45, v46
	v_cmp_ngt_f32_e32 vcc, s9, v39
	v_ldexp_f32 v46, v124, v128
	v_mul_f32_e32 v124, 0x3d92220c, v43
	v_fma_f32 v124, -v43, v124, s10
	v_mul_f32_e32 v124, v43, v124
	v_mfma_f32_32x32x2_f32 v[0:15], v81, v125, v[0:15]
	v_mul_f32_e32 v128, 0x3fb8aa3b, v124
	v_fma_f32 v129, v124, s11, -v128
	v_rndne_f32_e32 v130, v128
	v_fmac_f32_e32 v129, 0x32a5705f, v124
	v_sub_f32_e32 v128, v128, v130
	v_add_f32_e32 v125, v128, v129
	v_exp_f32_e32 v125, v125
	v_cvt_i32_f32_e32 v128, v130
	v_cndmask_b32_e32 v45, 0, v45, vcc
	v_cmp_ngt_f32_e32 vcc, s9, v47
	s_nop 1
	v_cndmask_b32_e32 v46, 0, v46, vcc
	v_cmp_nlt_f32_e32 vcc, s8, v47
	v_ldexp_f32 v47, v125, v128
	v_mfma_f32_32x32x2_f32 v[0:15], v82, v126, v[0:15]
	v_cndmask_b32_e32 v46, v33, v46, vcc
	v_cmp_ngt_f32_e32 vcc, s9, v124
	s_nop 1
	v_cndmask_b32_e32 v47, 0, v47, vcc
	v_cmp_nlt_f32_e32 vcc, s8, v124
	s_nop 1
	v_cndmask_b32_e32 v47, v33, v47, vcc
	v_add_f32_e64 v46, v46, 1.0
	v_add_f32_e64 v47, v47, 1.0
	v_cmp_nlt_f32_e32 vcc, s8, v39
	v_div_scale_f32 v124, s[20:21], v47, v47, 1.0
	v_rcp_f32_e32 v125, v124
	v_cndmask_b32_e32 v45, v33, v45, vcc
	v_mfma_f32_32x32x2_f32 v[0:15], v83, v127, v[0:15]
	v_add_f32_e64 v44, v44, 1.0
	v_add_f32_e64 v45, v45, 1.0
	v_fma_f32 v39, -v124, v125, 1.0
	v_fmac_f32_e32 v125, v39, v125
	v_div_scale_f32 v39, vcc, 1.0, v47, 1.0
	v_mul_f32_e32 v126, v39, v125
	v_fma_f32 v128, -v124, v126, v39
	v_fmac_f32_e32 v126, v128, v125
	v_fma_f32 v39, -v124, v126, v39
	v_div_scale_f32 v124, s[20:21], v46, v46, 1.0
	v_rcp_f32_e32 v128, v124
	v_div_fmas_f32 v39, v39, v125, v126
	v_div_fixup_f32 v47, v39, v47, 1.0
	v_fma_f32 v39, -v124, v128, 1.0
	v_fmac_f32_e32 v128, v39, v128
	v_div_scale_f32 v39, vcc, 1.0, v46, 1.0
	v_mul_f32_e32 v125, v39, v128
	v_fma_f32 v126, -v124, v125, v39
	v_fmac_f32_e32 v125, v126, v128
	v_fma_f32 v39, -v124, v125, v39
	v_div_scale_f32 v124, s[20:21], v45, v45, 1.0
	v_rcp_f32_e32 v126, v124
	v_mfma_f32_32x32x2_f32 v[0:15], v72, v120, v[0:15]
	v_div_fmas_f32 v39, v39, v128, v125
	v_div_fixup_f32 v46, v39, v46, 1.0
	v_fma_f32 v39, -v124, v126, 1.0
	v_fmac_f32_e32 v126, v39, v126
	v_div_scale_f32 v39, vcc, 1.0, v45, 1.0
	v_mul_f32_e32 v120, v39, v126
	v_fma_f32 v125, -v124, v120, v39
	v_fmac_f32_e32 v120, v125, v126
	v_fma_f32 v39, -v124, v120, v39
	v_div_scale_f32 v124, s[20:21], v44, v44, 1.0
	v_rcp_f32_e32 v125, v124
	v_div_fmas_f32 v39, v39, v126, v120
	v_div_fixup_f32 v45, v39, v45, 1.0
	v_mfma_f32_32x32x2_f32 v[0:15], v73, v121, v[0:15]
	v_fma_f32 v39, -v124, v125, 1.0
	v_fmac_f32_e32 v125, v39, v125
	v_div_scale_f32 v39, vcc, 1.0, v44, 1.0
	v_mul_f32_e32 v120, v39, v125
	v_fma_f32 v121, -v124, v120, v39
	v_fmac_f32_e32 v120, v121, v125
	v_fma_f32 v39, -v124, v120, v39
	v_div_fmas_f32 v39, v39, v125, v120
	v_div_fixup_f32 v44, v39, v44, 1.0
	s_mul_i32 s20, s17, -3
	v_mul_f32_e64 v42, v42, v46
	v_mul_f32_e64 v43, v43, v47
	;; [unrolled: 1-line block ×4, first 2 shown]
	v_lshlrev_b32_e32 v39, 2, v36
	v_add3_u32 v32, s20, 32, v32
	buffer_store_dwordx4 v[40:43], v39, s[0:3], 0 offen
	s_waitcnt lgkmcnt(0)
	; wave barrier
	ds_write2_b32 v144, v16, v17 offset1:32
	ds_write2_b32 v144, v18, v19 offset0:64 offset1:96
	ds_write2_b32 v145, v22, v23 offset0:64 offset1:96
	ds_write2_b32 v145, v20, v21 offset1:32
	ds_write2_b32 v37, v24, v25 offset1:32
	ds_write2_b32 v37, v26, v27 offset0:64 offset1:96
	ds_write2_b32 v38, v30, v31 offset0:64 offset1:96
	ds_write2_b32 v38, v28, v29 offset1:32
	v_lshlrev_b32_e32 v16, 2, v32
	v_add3_u32 v28, s19, 32, v34
	s_waitcnt lgkmcnt(0)
	; wave barrier
	buffer_load_dwordx4 v[16:19], v16, s[12:15], 0 offen
	v_lshlrev_b32_e32 v20, 2, v28
	buffer_load_dwordx4 v[20:23], v20, s[4:7], 0 offen
	v_mfma_f32_32x32x2_f32 v[0:15], v74, v122, v[0:15]
	ds_read_b128 v[24:27], v35
	ds_read_b128 v[40:43], v35 offset:128
	v_add_u32_e32 v32, s17, v32
	v_lshlrev_b32_e32 v29, 2, v32
	v_add_u32_e32 v34, s16, v28
	buffer_load_dwordx4 v[44:47], v29, s[12:15], 0 offen
	s_mul_i32 s21, s18, -3
	v_add3_u32 v36, s21, 32, v36
	v_add_u32_e32 v32, s17, v32
	s_sub_i32 s20, s20, 32
	s_sub_i32 s19, s19, 32
	s_waitcnt vmcnt(2) lgkmcnt(1)
	v_add_f32_e64 v16, v24, v16
	v_add_f32_e64 v17, v25, v17
	v_mfma_f32_32x32x2_f32 v[0:15], v75, v123, v[0:15]
	v_lshlrev_b32_e32 v24, 2, v34
	buffer_load_dwordx4 v[120:123], v24, s[4:7], 0 offen
	s_waitcnt vmcnt(2)
	v_add_f32_e64 v124, v16, v20
	v_add_f32_e64 v125, v17, v21
	v_add_u32_e32 v34, s16, v34
	v_mul_f32_e32 v16, 0x3d92220c, v124
	v_fma_f32 v16, -v124, v16, s10
	v_mul_f32_e32 v20, v124, v16
	v_mul_f32_e32 v16, 0x3fb8aa3b, v20
	v_fma_f32 v17, v20, s11, -v16
	v_rndne_f32_e32 v21, v16
	v_fmac_f32_e32 v17, 0x32a5705f, v20
	v_sub_f32_e32 v16, v16, v21
	v_add_f32_e32 v16, v16, v17
	v_exp_f32_e32 v24, v16
	v_cvt_i32_f32_e32 v21, v21
	v_mfma_f32_32x32x2_f32 v[0:15], v64, v112, v[0:15]
	v_add_f32_e64 v16, v26, v18
	v_add_f32_e64 v17, v27, v19
	v_cmp_ngt_f32_e32 vcc, s9, v20
	s_waitcnt vmcnt(1) lgkmcnt(0)
	v_add_f32_e64 v40, v40, v44
	v_add_f32_e64 v41, v41, v45
	v_mfma_f32_32x32x2_f32 v[0:15], v65, v113, v[0:15]
	v_add_f32_e64 v112, v16, v22
	v_add_f32_e64 v113, v17, v23
	v_ldexp_f32 v16, v24, v21
	v_cndmask_b32_e32 v16, 0, v16, vcc
	v_cmp_nlt_f32_e32 vcc, s8, v20
	s_nop 1
	v_cndmask_b32_e32 v126, v33, v16, vcc
	v_mul_f32_e32 v16, 0x3d92220c, v125
	v_fma_f32 v16, -v125, v16, s10
	v_mul_f32_e32 v39, v125, v16
	v_mul_f32_e32 v16, 0x3fb8aa3b, v39
	v_fma_f32 v17, v39, s11, -v16
	v_rndne_f32_e32 v18, v16
	v_fmac_f32_e32 v17, 0x32a5705f, v39
	v_sub_f32_e32 v16, v16, v18
	v_mfma_f32_32x32x2_f32 v[0:15], v66, v114, v[0:15]
	v_add_f32_e32 v16, v16, v17
	v_cvt_i32_f32_e32 v17, v18
	v_mul_f32_e32 v18, 0x3d92220c, v112
	v_fma_f32 v18, -v112, v18, s10
	v_mul_f32_e32 v114, v112, v18
	v_mul_f32_e32 v18, 0x3fb8aa3b, v114
	v_exp_f32_e32 v16, v16
	v_fma_f32 v19, v114, s11, -v18
	v_rndne_f32_e32 v20, v18
	v_fmac_f32_e32 v19, 0x32a5705f, v114
	v_sub_f32_e32 v18, v18, v20
	v_add_f32_e32 v18, v18, v19
	v_exp_f32_e32 v18, v18
	v_cvt_i32_f32_e32 v19, v20
	v_ldexp_f32 v16, v16, v17
	v_cmp_ngt_f32_e32 vcc, s9, v39
	v_mfma_f32_32x32x2_f32 v[0:15], v67, v115, v[0:15]
	v_ldexp_f32 v115, v18, v19
	v_cndmask_b32_e32 v127, 0, v16, vcc
	v_mul_f32_e32 v16, 0x3d92220c, v113
	v_fma_f32 v16, -v113, v16, s10
	v_mul_f32_e32 v128, v113, v16
	v_mul_f32_e32 v129, 0x3fb8aa3b, v128
	v_fma_f32 v130, v128, s11, -v129
	v_fmac_f32_e32 v130, 0x32a5705f, v128
	v_cmp_ngt_f32_e32 vcc, s9, v114
	s_nop 1
	v_cndmask_b32_e32 v115, 0, v115, vcc
	v_cmp_nlt_f32_e32 vcc, s8, v114
	v_mfma_f32_32x32x2_f32 v[16:31], v116, v104, 0
	v_rndne_f32_e32 v104, v129
	v_sub_f32_e32 v116, v129, v104
	v_add_f32_e32 v116, v116, v130
	v_exp_f32_e32 v116, v116
	v_cvt_i32_f32_e32 v104, v104
	v_cndmask_b32_e32 v114, v33, v115, vcc
	v_cmp_ngt_f32_e32 vcc, s9, v128
	v_ldexp_f32 v104, v116, v104
	s_nop 0
	v_cndmask_b32_e32 v104, 0, v104, vcc
	v_cmp_nlt_f32_e32 vcc, s8, v128
	s_nop 1
	v_cndmask_b32_e32 v115, v33, v104, vcc
	v_cmp_nlt_f32_e32 vcc, s8, v39
	v_mfma_f32_32x32x2_f32 v[16:31], v117, v105, v[16:31]
	v_add_f32_e64 v104, v114, 1.0
	v_add_f32_e64 v105, v115, 1.0
	v_cndmask_b32_e32 v127, v33, v127, vcc
	v_div_scale_f32 v116, s[22:23], v105, v105, 1.0
	v_rcp_f32_e32 v117, v116
	v_pk_add_f32 v[114:115], v[126:127], 1.0 op_sel_hi:[1,0]
	v_fma_f32 v39, -v116, v117, 1.0
	v_fmac_f32_e32 v117, v39, v117
	v_div_scale_f32 v39, vcc, 1.0, v105, 1.0
	v_mul_f32_e32 v126, v39, v117
	v_fma_f32 v127, -v116, v126, v39
	v_fmac_f32_e32 v126, v127, v117
	v_mfma_f32_32x32x2_f32 v[16:31], v118, v106, v[16:31]
	v_div_scale_f32 v106, s[22:23], v104, v104, 1.0
	v_fma_f32 v39, -v116, v126, v39
	v_rcp_f32_e32 v116, v106
	v_div_fmas_f32 v39, v39, v117, v126
	v_div_fixup_f32 v105, v39, v105, 1.0
	v_fma_f32 v39, -v106, v116, 1.0
	v_fmac_f32_e32 v116, v39, v116
	v_div_scale_f32 v39, vcc, 1.0, v104, 1.0
	v_mul_f32_e32 v117, v39, v116
	v_fma_f32 v118, -v106, v117, v39
	v_fmac_f32_e32 v117, v118, v116
	v_fma_f32 v39, -v106, v117, v39
	v_mfma_f32_32x32x2_f32 v[16:31], v119, v107, v[16:31]
	v_div_scale_f32 v106, s[22:23], v115, v115, 1.0
	v_rcp_f32_e32 v107, v106
	v_div_fmas_f32 v39, v39, v116, v117
	v_div_fixup_f32 v104, v39, v104, 1.0
	v_fma_f32 v39, -v106, v107, 1.0
	v_fmac_f32_e32 v107, v39, v107
	v_div_scale_f32 v39, vcc, 1.0, v115, 1.0
	v_mul_f32_e32 v116, v39, v107
	v_fma_f32 v117, -v106, v116, v39
	v_fmac_f32_e32 v116, v117, v107
	v_fma_f32 v39, -v106, v116, v39
	v_div_scale_f32 v106, s[22:23], v114, v114, 1.0
	v_mfma_f32_32x32x2_f32 v[16:31], v108, v100, v[16:31]
	v_rcp_f32_e32 v117, v106
	v_div_fmas_f32 v39, v39, v107, v116
	v_div_fixup_f32 v115, v39, v115, 1.0
	v_add_u32_e32 v108, s18, v36
	v_fma_f32 v39, -v106, v117, 1.0
	v_fmac_f32_e32 v117, v39, v117
	v_div_scale_f32 v39, vcc, 1.0, v114, 1.0
	v_mul_f32_e32 v100, v39, v117
	v_fma_f32 v107, -v106, v100, v39
	v_fmac_f32_e32 v100, v107, v117
	v_fma_f32 v39, -v106, v100, v39
	v_div_fmas_f32 v39, v39, v117, v100
	v_div_fixup_f32 v114, v39, v114, 1.0
	v_pk_mul_f32 v[106:107], v[112:113], v[104:105]
	v_mfma_f32_32x32x2_f32 v[16:31], v109, v101, v[16:31]
	v_mul_f32_e64 v104, v124, v114
	v_mul_f32_e64 v105, v125, v115
	v_lshlrev_b32_e32 v39, 2, v36
	s_waitcnt vmcnt(0)
	v_add_f32_e64 v100, v40, v120
	v_add_f32_e64 v101, v41, v121
	buffer_store_dwordx4 v[104:107], v39, s[0:3], 0 offen
	v_mul_f32_e32 v39, 0x3d92220c, v100
	v_fma_f32 v39, -v100, v39, s10
	v_mul_f32_e32 v39, v100, v39
	v_mul_f32_e32 v40, 0x3fb8aa3b, v39
	v_fma_f32 v41, v39, s11, -v40
	v_rndne_f32_e32 v44, v40
	v_fmac_f32_e32 v41, 0x32a5705f, v39
	v_sub_f32_e32 v40, v40, v44
	v_add_f32_e32 v40, v40, v41
	v_exp_f32_e32 v45, v40
	v_pk_add_f32 v[40:41], v[42:43], v[46:47]
	v_mfma_f32_32x32x2_f32 v[16:31], v110, v102, v[16:31]
	v_add_f32_e64 v104, v40, v122
	v_add_f32_e64 v105, v41, v123
	v_mul_f32_e32 v40, 0x3d92220c, v101
	v_fma_f32 v40, -v101, v40, s10
	v_mul_f32_e32 v106, v101, v40
	v_cvt_i32_f32_e32 v44, v44
	v_mul_f32_e32 v40, 0x3fb8aa3b, v106
	v_fma_f32 v41, v106, s11, -v40
	v_rndne_f32_e32 v42, v40
	v_fmac_f32_e32 v41, 0x32a5705f, v106
	v_sub_f32_e32 v40, v40, v42
	v_add_f32_e32 v40, v40, v41
	v_ldexp_f32 v36, v45, v44
	v_exp_f32_e32 v40, v40
	v_cvt_i32_f32_e32 v41, v42
	v_cmp_ngt_f32_e32 vcc, s9, v39
	v_mfma_f32_32x32x2_f32 v[16:31], v111, v103, v[16:31]
	v_lshlrev_b32_e32 v44, 2, v34
	v_cndmask_b32_e32 v36, 0, v36, vcc
	v_cmp_nlt_f32_e32 vcc, s8, v39
	v_mul_f32_e32 v39, 0x3d92220c, v104
	v_fma_f32 v39, -v104, v39, s10
	v_mul_f32_e32 v39, v104, v39
	v_cndmask_b32_e32 v102, v33, v36, vcc
	v_ldexp_f32 v36, v40, v41
	v_mul_f32_e32 v40, 0x3fb8aa3b, v39
	v_fma_f32 v41, v39, s11, -v40
	v_rndne_f32_e32 v42, v40
	v_fmac_f32_e32 v41, 0x32a5705f, v39
	v_sub_f32_e32 v40, v40, v42
	v_add_f32_e32 v40, v40, v41
	v_exp_f32_e32 v40, v40
	v_mfma_f32_32x32x2_f32 v[16:31], v96, v92, v[16:31]
	v_cvt_i32_f32_e32 v41, v42
	v_cmp_ngt_f32_e32 vcc, s9, v106
	buffer_load_dwordx4 v[44:47], v44, s[4:7], 0 offen
	v_add_u32_e32 v34, s16, v34
	v_ldexp_f32 v40, v40, v41
	v_mul_f32_e32 v41, 0x3d92220c, v105
	v_fma_f32 v41, -v105, v41, s10
	v_mul_f32_e32 v96, v105, v41
	v_mul_f32_e32 v41, 0x3fb8aa3b, v96
	v_fma_f32 v42, v96, s11, -v41
	v_rndne_f32_e32 v43, v41
	v_fmac_f32_e32 v42, 0x32a5705f, v96
	v_sub_f32_e32 v41, v41, v43
	v_add_f32_e32 v41, v41, v42
	v_exp_f32_e32 v41, v41
	v_mfma_f32_32x32x2_f32 v[16:31], v97, v93, v[16:31]
	v_cvt_i32_f32_e32 v42, v43
	v_cndmask_b32_e32 v36, 0, v36, vcc
	v_cmp_ngt_f32_e32 vcc, s9, v39
	s_nop 1
	v_cndmask_b32_e32 v40, 0, v40, vcc
	v_cmp_nlt_f32_e32 vcc, s8, v39
	v_ldexp_f32 v39, v41, v42
	s_nop 0
	v_cndmask_b32_e32 v92, v33, v40, vcc
	v_lshlrev_b32_e32 v40, 2, v32
	buffer_load_dwordx4 v[40:43], v40, s[12:15], 0 offen
	v_cmp_ngt_f32_e32 vcc, s9, v96
	v_mfma_f32_32x32x2_f32 v[16:31], v98, v94, v[16:31]
	s_nop 0
	v_cndmask_b32_e32 v39, 0, v39, vcc
	v_cmp_nlt_f32_e32 vcc, s8, v96
	s_nop 1
	v_cndmask_b32_e32 v93, v33, v39, vcc
	v_add_f32_e64 v92, v92, 1.0
	v_add_f32_e64 v93, v93, 1.0
	v_cmp_nlt_f32_e32 vcc, s8, v106
	v_div_scale_f32 v39, s[22:23], v93, v93, 1.0
	v_rcp_f32_e32 v94, v39
	v_cndmask_b32_e32 v103, v33, v36, vcc
	v_pk_add_f32 v[96:97], v[102:103], 1.0 op_sel_hi:[1,0]
	v_fma_f32 v36, -v39, v94, 1.0
	v_fmac_f32_e32 v94, v36, v94
	v_mfma_f32_32x32x2_f32 v[16:31], v99, v95, v[16:31]
	v_div_scale_f32 v36, vcc, 1.0, v93, 1.0
	v_mul_f32_e32 v98, v36, v94
	v_fma_f32 v102, -v39, v98, v36
	v_fmac_f32_e32 v98, v102, v94
	v_fma_f32 v36, -v39, v98, v36
	v_div_scale_f32 v39, s[22:23], v92, v92, 1.0
	v_rcp_f32_e32 v102, v39
	v_div_fmas_f32 v36, v36, v94, v98
	v_div_fixup_f32 v93, v36, v93, 1.0
	v_fma_f32 v36, -v39, v102, 1.0
	v_fmac_f32_e32 v102, v36, v102
	v_div_scale_f32 v36, vcc, 1.0, v92, 1.0
	v_mfma_f32_32x32x2_f32 v[16:31], v88, v84, v[16:31]
	v_mul_f32_e32 v94, v36, v102
	v_fma_f32 v95, -v39, v94, v36
	v_fmac_f32_e32 v94, v95, v102
	v_fma_f32 v36, -v39, v94, v36
	v_div_scale_f32 v39, s[22:23], v97, v97, 1.0
	v_rcp_f32_e32 v95, v39
	v_div_fmas_f32 v36, v36, v102, v94
	v_div_fixup_f32 v92, v36, v92, 1.0
	v_fma_f32 v36, -v39, v95, 1.0
	v_fmac_f32_e32 v95, v36, v95
	v_div_scale_f32 v36, vcc, 1.0, v97, 1.0
	v_mul_f32_e32 v84, v36, v95
	v_mfma_f32_32x32x2_f32 v[16:31], v89, v85, v[16:31]
	v_fma_f32 v88, -v39, v84, v36
	v_fmac_f32_e32 v84, v88, v95
	v_fma_f32 v36, -v39, v84, v36
	v_div_scale_f32 v39, s[22:23], v96, v96, 1.0
	v_rcp_f32_e32 v88, v39
	v_div_fmas_f32 v36, v36, v95, v84
	v_div_fixup_f32 v97, v36, v97, 1.0
	v_pk_mul_f32 v[94:95], v[104:105], v[92:93]
	v_fma_f32 v36, -v39, v88, 1.0
	v_fmac_f32_e32 v88, v36, v88
	v_div_scale_f32 v36, vcc, 1.0, v96, 1.0
	v_mul_f32_e32 v84, v36, v88
	v_fma_f32 v85, -v39, v84, v36
	v_mfma_f32_32x32x2_f32 v[16:31], v90, v86, v[16:31]
	v_fmac_f32_e32 v84, v85, v88
	v_fma_f32 v36, -v39, v84, v36
	v_div_fmas_f32 v36, v36, v88, v84
	v_div_fixup_f32 v96, v36, v96, 1.0
	v_mul_f32_e64 v92, v100, v96
	v_mul_f32_e64 v93, v101, v97
	v_lshlrev_b32_e32 v36, 2, v108
	buffer_store_dwordx4 v[92:95], v36, s[0:3], 0 offen
	ds_read_b128 v[92:95], v35 offset:256
	ds_read_b128 v[96:99], v35 offset:384
	v_add_u32_e32 v36, s17, v32
	v_lshlrev_b32_e32 v32, 2, v36
	buffer_load_dwordx4 v[100:103], v32, s[12:15], 0 offen
	s_waitcnt vmcnt(2) lgkmcnt(1)
	v_pk_add_f32 v[40:41], v[92:93], v[40:41]
	v_lshlrev_b32_e32 v32, 2, v34
	buffer_load_dwordx4 v[104:107], v32, s[4:7], 0 offen
	v_mfma_f32_32x32x2_f32 v[16:31], v91, v87, v[16:31]
	v_add_f32_e64 v40, v40, v44
	v_add_f32_e64 v41, v41, v45
	;; [unrolled: 1-line block ×4, first 2 shown]
	v_mul_f32_e32 v32, 0x3d92220c, v40
	v_fma_f32 v32, -v40, v32, s10
	v_mul_f32_e32 v32, v40, v32
	v_mul_f32_e32 v39, 0x3fb8aa3b, v32
	v_fma_f32 v44, v32, s11, -v39
	v_rndne_f32_e32 v45, v39
	v_fmac_f32_e32 v44, 0x32a5705f, v32
	v_sub_f32_e32 v39, v39, v45
	v_add_f32_e32 v39, v39, v44
	v_exp_f32_e32 v39, v39
	v_cvt_i32_f32_e32 v44, v45
	v_cmp_ngt_f32_e32 vcc, s9, v32
	v_pk_add_f32 v[42:43], v[42:43], v[46:47]
	v_mfma_f32_32x32x2_f32 v[16:31], v80, v76, v[16:31]
	v_ldexp_f32 v39, v39, v44
	v_cndmask_b32_e32 v39, 0, v39, vcc
	v_cmp_nlt_f32_e32 vcc, s8, v32
	v_mul_f32_e32 v32, 0x3d92220c, v41
	v_fma_f32 v32, -v41, v32, s10
	v_mul_f32_e32 v32, v41, v32
	v_cndmask_b32_e32 v44, v33, v39, vcc
	v_mul_f32_e32 v39, 0x3fb8aa3b, v32
	v_fma_f32 v45, v32, s11, -v39
	v_rndne_f32_e32 v46, v39
	v_fmac_f32_e32 v45, 0x32a5705f, v32
	v_sub_f32_e32 v39, v39, v46
	v_add_f32_e32 v39, v39, v45
	v_cvt_i32_f32_e32 v45, v46
	v_mul_f32_e32 v46, 0x3d92220c, v42
	v_mfma_f32_32x32x2_f32 v[16:31], v81, v77, v[16:31]
	v_fma_f32 v46, -v42, v46, s10
	v_mul_f32_e32 v46, v42, v46
	v_mul_f32_e32 v47, 0x3fb8aa3b, v46
	v_fma_f32 v76, v46, s11, -v47
	v_rndne_f32_e32 v77, v47
	v_fmac_f32_e32 v76, 0x32a5705f, v46
	v_sub_f32_e32 v47, v47, v77
	v_add_f32_e32 v47, v47, v76
	v_exp_f32_e32 v39, v39
	v_exp_f32_e32 v47, v47
	v_cvt_i32_f32_e32 v76, v77
	v_cmp_ngt_f32_e32 vcc, s9, v32
	v_ldexp_f32 v39, v39, v45
	v_add_u32_e32 v84, s18, v108
	v_ldexp_f32 v45, v47, v76
	v_mfma_f32_32x32x2_f32 v[16:31], v82, v78, v[16:31]
	v_mul_f32_e32 v47, 0x3d92220c, v43
	v_fma_f32 v47, -v43, v47, s10
	v_mul_f32_e32 v47, v43, v47
	v_mul_f32_e32 v76, 0x3fb8aa3b, v47
	v_fma_f32 v77, v47, s11, -v76
	v_rndne_f32_e32 v78, v76
	v_fmac_f32_e32 v77, 0x32a5705f, v47
	v_sub_f32_e32 v76, v76, v78
	v_add_f32_e32 v76, v76, v77
	v_exp_f32_e32 v76, v76
	v_cvt_i32_f32_e32 v77, v78
	v_cndmask_b32_e32 v39, 0, v39, vcc
	v_cmp_ngt_f32_e32 vcc, s9, v46
	v_mfma_f32_32x32x2_f32 v[16:31], v83, v79, v[16:31]
	s_nop 0
	v_cndmask_b32_e32 v45, 0, v45, vcc
	v_cmp_nlt_f32_e32 vcc, s8, v46
	s_nop 1
	v_cndmask_b32_e32 v46, v33, v45, vcc
	v_ldexp_f32 v45, v76, v77
	v_cmp_ngt_f32_e32 vcc, s9, v47
	s_nop 1
	v_cndmask_b32_e32 v45, 0, v45, vcc
	v_cmp_nlt_f32_e32 vcc, s8, v47
	s_nop 1
	v_cndmask_b32_e32 v47, v33, v45, vcc
	v_add_f32_e64 v46, v46, 1.0
	v_add_f32_e64 v47, v47, 1.0
	v_mfma_f32_32x32x2_f32 v[16:31], v72, v68, v[16:31]
	v_div_scale_f32 v76, s[22:23], v47, v47, 1.0
	v_rcp_f32_e32 v77, v76
	v_cmp_nlt_f32_e32 vcc, s8, v32
	v_div_scale_f32 v68, s[22:23], v46, v46, 1.0
	v_fma_f32 v32, -v76, v77, 1.0
	v_cndmask_b32_e32 v45, v33, v39, vcc
	v_fmac_f32_e32 v77, v32, v77
	v_div_scale_f32 v32, vcc, 1.0, v47, 1.0
	v_mul_f32_e32 v39, v32, v77
	v_fma_f32 v78, -v76, v39, v32
	v_rcp_f32_e32 v72, v68
	v_fmac_f32_e32 v39, v78, v77
	v_mfma_f32_32x32x2_f32 v[16:31], v73, v69, v[16:31]
	v_fma_f32 v32, -v76, v39, v32
	v_div_fmas_f32 v32, v32, v77, v39
	v_div_fixup_f32 v47, v32, v47, 1.0
	v_fma_f32 v32, -v68, v72, 1.0
	v_fmac_f32_e32 v72, v32, v72
	v_div_scale_f32 v32, vcc, 1.0, v46, 1.0
	v_mul_f32_e32 v39, v32, v72
	v_fma_f32 v76, -v68, v39, v32
	v_add_f32_e64 v44, v44, 1.0
	v_add_f32_e64 v45, v45, 1.0
	v_fmac_f32_e32 v39, v76, v72
	v_fma_f32 v32, -v68, v39, v32
	v_div_scale_f32 v68, s[22:23], v45, v45, 1.0
	v_rcp_f32_e32 v69, v68
	v_mfma_f32_32x32x2_f32 v[16:31], v74, v70, v[16:31]
	v_div_fmas_f32 v32, v32, v72, v39
	v_div_fixup_f32 v46, v32, v46, 1.0
	v_fma_f32 v32, -v68, v69, 1.0
	v_fmac_f32_e32 v69, v32, v69
	v_div_scale_f32 v32, vcc, 1.0, v45, 1.0
	v_mul_f32_e32 v39, v32, v69
	v_fma_f32 v72, -v68, v39, v32
	v_fmac_f32_e32 v39, v72, v69
	v_fma_f32 v32, -v68, v39, v32
	v_div_scale_f32 v68, s[22:23], v44, v44, 1.0
	v_rcp_f32_e32 v72, v68
	v_div_fmas_f32 v32, v32, v69, v39
	v_div_fixup_f32 v45, v32, v45, 1.0
	v_mfma_f32_32x32x2_f32 v[16:31], v75, v71, v[16:31]
	v_fma_f32 v32, -v68, v72, 1.0
	v_fmac_f32_e32 v72, v32, v72
	v_div_scale_f32 v32, vcc, 1.0, v44, 1.0
	v_mul_f32_e32 v39, v32, v72
	v_fma_f32 v69, -v68, v39, v32
	v_fmac_f32_e32 v39, v69, v72
	v_fma_f32 v32, -v68, v39, v32
	v_div_fmas_f32 v32, v32, v72, v39
	v_div_fixup_f32 v44, v32, v44, 1.0
	v_mul_f32_e64 v42, v42, v46
	v_mul_f32_e64 v43, v43, v47
	;; [unrolled: 1-line block ×4, first 2 shown]
	v_lshlrev_b32_e32 v32, 2, v84
	buffer_store_dwordx4 v[40:43], v32, s[0:3], 0 offen
	v_mfma_f32_32x32x2_f32 v[16:31], v64, v60, v[16:31]
	s_waitcnt vmcnt(2) lgkmcnt(0)
	v_add_f32_e64 v40, v96, v100
	v_add_f32_e64 v41, v97, v101
	s_waitcnt vmcnt(1)
	v_add_f32_e64 v40, v40, v104
	v_add_f32_e64 v41, v41, v105
	v_mul_f32_e32 v32, 0x3d92220c, v40
	v_fma_f32 v32, -v40, v32, s10
	v_mul_f32_e32 v39, v40, v32
	v_mul_f32_e32 v32, 0x3fb8aa3b, v39
	v_fma_f32 v42, v39, s11, -v32
	v_rndne_f32_e32 v43, v32
	v_fmac_f32_e32 v42, 0x32a5705f, v39
	v_sub_f32_e32 v32, v32, v43
	v_add_f32_e32 v32, v32, v42
	v_exp_f32_e32 v44, v32
	v_cvt_i32_f32_e32 v45, v43
	v_mfma_f32_32x32x2_f32 v[16:31], v65, v61, v[16:31]
	v_add_f32_e64 v42, v98, v102
	v_add_f32_e64 v43, v99, v103
	v_cmp_ngt_f32_e32 vcc, s9, v39
	v_ldexp_f32 v44, v44, v45
	v_mul_f32_e32 v45, 0x3d92220c, v41
	v_fma_f32 v45, -v41, v45, s10
	v_mul_f32_e32 v45, v41, v45
	v_mul_f32_e32 v46, 0x3fb8aa3b, v45
	v_fma_f32 v47, v45, s11, -v46
	v_rndne_f32_e32 v60, v46
	v_fmac_f32_e32 v47, 0x32a5705f, v45
	v_sub_f32_e32 v46, v46, v60
	v_add_f32_e32 v46, v46, v47
	v_exp_f32_e32 v46, v46
	v_cvt_i32_f32_e32 v47, v60
	v_pk_add_f32 v[42:43], v[42:43], v[106:107]
	v_mfma_f32_32x32x2_f32 v[16:31], v66, v62, v[16:31]
	v_cndmask_b32_e32 v44, 0, v44, vcc
	v_cmp_nlt_f32_e32 vcc, s8, v39
	v_ldexp_f32 v39, v46, v47
	v_mul_f32_e32 v46, 0x3d92220c, v42
	v_fma_f32 v46, -v42, v46, s10
	v_mul_f32_e32 v46, v42, v46
	v_mul_f32_e32 v47, 0x3fb8aa3b, v46
	v_fma_f32 v60, v46, s11, -v47
	v_rndne_f32_e32 v61, v47
	v_fmac_f32_e32 v60, 0x32a5705f, v46
	v_sub_f32_e32 v47, v47, v61
	v_add_f32_e32 v47, v47, v60
	v_exp_f32_e32 v47, v47
	v_cvt_i32_f32_e32 v60, v61
	v_cndmask_b32_e32 v44, v33, v44, vcc
	v_mfma_f32_32x32x2_f32 v[16:31], v67, v63, v[16:31]
	v_cmp_ngt_f32_e32 vcc, s9, v45
	v_ldexp_f32 v47, v47, v60
	v_mul_f32_e32 v60, 0x3d92220c, v43
	v_fma_f32 v60, -v43, v60, s10
	v_mul_f32_e32 v60, v43, v60
	v_mul_f32_e32 v61, 0x3fb8aa3b, v60
	v_fma_f32 v62, v60, s11, -v61
	v_rndne_f32_e32 v64, v61
	v_fmac_f32_e32 v62, 0x32a5705f, v60
	v_sub_f32_e32 v61, v61, v64
	v_add_f32_e32 v61, v61, v62
	v_exp_f32_e32 v61, v61
	v_cvt_i32_f32_e32 v62, v64
	v_cndmask_b32_e32 v39, 0, v39, vcc
	v_cmp_ngt_f32_e32 vcc, s9, v46
	v_mfma_f32_32x32x2_f32 v[16:31], v52, v56, v[16:31]
	v_add_u32_e32 v32, s18, v84
	v_cndmask_b32_e32 v47, 0, v47, vcc
	v_cmp_nlt_f32_e32 vcc, s8, v46
	s_nop 1
	v_cndmask_b32_e32 v46, v33, v47, vcc
	v_ldexp_f32 v47, v61, v62
	v_cmp_ngt_f32_e32 vcc, s9, v60
	s_nop 1
	v_cndmask_b32_e32 v47, 0, v47, vcc
	v_cmp_nlt_f32_e32 vcc, s8, v60
	s_nop 1
	v_cndmask_b32_e32 v47, v33, v47, vcc
	v_mfma_f32_32x32x2_f32 v[16:31], v53, v57, v[16:31]
	v_add_f32_e64 v46, v46, 1.0
	v_add_f32_e64 v47, v47, 1.0
	v_cmp_nlt_f32_e32 vcc, s8, v45
	v_div_scale_f32 v60, s[22:23], v47, v47, 1.0
	v_rcp_f32_e32 v61, v60
	v_cndmask_b32_e32 v45, v33, v39, vcc
	v_pk_add_f32 v[44:45], v[44:45], 1.0 op_sel_hi:[1,0]
	v_fma_f32 v39, -v60, v61, 1.0
	v_fmac_f32_e32 v61, v39, v61
	v_div_scale_f32 v39, vcc, 1.0, v47, 1.0
	v_mul_f32_e32 v56, v39, v61
	v_fma_f32 v62, -v60, v56, v39
	v_fmac_f32_e32 v56, v62, v61
	v_fma_f32 v39, -v60, v56, v39
	v_div_scale_f32 v60, s[22:23], v46, v46, 1.0
	v_rcp_f32_e32 v62, v60
	v_mfma_f32_32x32x2_f32 v[16:31], v54, v58, v[16:31]
	v_div_fmas_f32 v39, v39, v61, v56
	v_div_fixup_f32 v47, v39, v47, 1.0
	v_fma_f32 v39, -v60, v62, 1.0
	v_fmac_f32_e32 v62, v39, v62
	v_div_scale_f32 v39, vcc, 1.0, v46, 1.0
	v_mul_f32_e32 v56, v39, v62
	v_fma_f32 v57, -v60, v56, v39
	v_fmac_f32_e32 v56, v57, v62
	v_div_scale_f32 v57, s[22:23], v45, v45, 1.0
	v_fma_f32 v39, -v60, v56, v39
	v_rcp_f32_e32 v60, v57
	v_div_fmas_f32 v39, v39, v62, v56
	v_div_fixup_f32 v46, v39, v46, 1.0
	v_mfma_f32_32x32x2_f32 v[16:31], v55, v59, v[16:31]
	v_fma_f32 v39, -v57, v60, 1.0
	v_fmac_f32_e32 v60, v39, v60
	v_div_scale_f32 v39, vcc, 1.0, v45, 1.0
	v_mul_f32_e32 v56, v39, v60
	v_fma_f32 v58, -v57, v56, v39
	v_fmac_f32_e32 v56, v58, v60
	v_fma_f32 v39, -v57, v56, v39
	v_div_scale_f32 v57, s[22:23], v44, v44, 1.0
	v_rcp_f32_e32 v58, v57
	v_div_fmas_f32 v39, v39, v60, v56
	v_div_fixup_f32 v45, v39, v45, 1.0
	v_pk_mul_f32 v[42:43], v[42:43], v[46:47]
	v_fma_f32 v39, -v57, v58, 1.0
	v_fmac_f32_e32 v58, v39, v58
	v_div_scale_f32 v39, vcc, 1.0, v44, 1.0
	v_mul_f32_e32 v56, v39, v58
	v_fma_f32 v59, -v57, v56, v39
	v_fmac_f32_e32 v56, v59, v58
	v_fma_f32 v39, -v57, v56, v39
	v_div_fmas_f32 v39, v39, v58, v56
	v_div_fixup_f32 v44, v39, v44, 1.0
	v_pk_mul_f32 v[40:41], v[40:41], v[44:45]
	v_lshlrev_b32_e32 v39, 2, v32
	buffer_store_dwordx4 v[40:43], v39, s[0:3], 0 offen
	s_waitcnt lgkmcnt(0)
	; wave barrier
	ds_write2_b32 v144, v16, v17 offset1:32
	ds_write2_b32 v144, v18, v19 offset0:64 offset1:96
	v_mad_u64_u32 v[40:41], s[22:23], s17, 29, v[36:37]
	v_lshlrev_b32_e32 v16, 2, v40
	v_mad_u64_u32 v[44:45], s[22:23], s16, 29, v[34:35]
	ds_write2_b32 v145, v22, v23 offset0:64 offset1:96
	ds_write2_b32 v145, v20, v21 offset1:32
	ds_write2_b32 v37, v24, v25 offset1:32
	ds_write2_b32 v37, v26, v27 offset0:64 offset1:96
	ds_write2_b32 v38, v30, v31 offset0:64 offset1:96
	ds_write2_b32 v38, v28, v29 offset1:32
	s_waitcnt lgkmcnt(0)
	; wave barrier
	buffer_load_dwordx4 v[16:19], v16, s[12:15], 0 offen
	v_lshlrev_b32_e32 v20, 2, v44
	buffer_load_dwordx4 v[20:23], v20, s[4:7], 0 offen
	ds_read_b128 v[24:27], v35
	ds_read_b128 v[28:31], v35 offset:128
	v_add_u32_e32 v34, s17, v40
	v_lshlrev_b32_e32 v36, 2, v34
	buffer_load_dwordx4 v[40:43], v36, s[12:15], 0 offen
	v_add_u32_e32 v36, s16, v44
	v_add_u32_e32 v34, s17, v34
	v_mfma_f32_32x32x2_f32 v[0:15], v52, v48, v[0:15]
	s_waitcnt vmcnt(2) lgkmcnt(1)
	v_add_f32_e64 v16, v24, v16
	v_add_f32_e64 v17, v25, v17
	v_lshlrev_b32_e32 v24, 2, v36
	buffer_load_dwordx4 v[44:47], v24, s[4:7], 0 offen
	s_waitcnt vmcnt(2)
	v_add_f32_e64 v16, v16, v20
	v_add_f32_e64 v17, v17, v21
	;; [unrolled: 1-line block ×4, first 2 shown]
	v_mul_f32_e32 v20, 0x3d92220c, v16
	v_fma_f32 v20, -v16, v20, s10
	v_mul_f32_e32 v24, v16, v20
	v_mul_f32_e32 v20, 0x3fb8aa3b, v24
	v_fma_f32 v21, v24, s11, -v20
	v_rndne_f32_e32 v25, v20
	v_fmac_f32_e32 v21, 0x32a5705f, v24
	v_sub_f32_e32 v20, v20, v25
	v_add_f32_e32 v20, v20, v21
	v_exp_f32_e32 v39, v20
	v_cvt_i32_f32_e32 v25, v25
	v_mad_u64_u32 v[20:21], s[22:23], s18, 29, v[32:33]
	v_cmp_ngt_f32_e32 vcc, s9, v24
	v_ldexp_f32 v21, v39, v25
	v_pk_add_f32 v[18:19], v[18:19], v[22:23]
	v_cndmask_b32_e32 v21, 0, v21, vcc
	v_cmp_nlt_f32_e32 vcc, s8, v24
	v_add_u32_e32 v36, s16, v36
	v_mfma_f32_32x32x2_f32 v[0:15], v53, v49, v[0:15]
	v_cndmask_b32_e32 v22, v33, v21, vcc
	v_mul_f32_e32 v21, 0x3d92220c, v17
	v_fma_f32 v21, -v17, v21, s10
	v_mul_f32_e32 v21, v17, v21
	v_mul_f32_e32 v23, 0x3fb8aa3b, v21
	v_fma_f32 v24, v21, s11, -v23
	v_rndne_f32_e32 v25, v23
	v_fmac_f32_e32 v24, 0x32a5705f, v21
	v_sub_f32_e32 v23, v23, v25
	v_add_f32_e32 v23, v23, v24
	v_cvt_i32_f32_e32 v24, v25
	v_mul_f32_e32 v25, 0x3d92220c, v18
	v_fma_f32 v25, -v18, v25, s10
	v_mul_f32_e32 v25, v18, v25
	v_mul_f32_e32 v26, 0x3fb8aa3b, v25
	v_fma_f32 v27, v25, s11, -v26
	v_rndne_f32_e32 v32, v26
	v_fmac_f32_e32 v27, 0x32a5705f, v25
	v_sub_f32_e32 v26, v26, v32
	v_add_f32_e32 v26, v26, v27
	v_exp_f32_e32 v23, v23
	v_exp_f32_e32 v26, v26
	v_cvt_i32_f32_e32 v27, v32
	v_cmp_ngt_f32_e32 vcc, s9, v21
	v_ldexp_f32 v23, v23, v24
	v_mfma_f32_32x32x2_f32 v[0:15], v54, v50, v[0:15]
	v_ldexp_f32 v24, v26, v27
	v_mul_f32_e32 v26, 0x3d92220c, v19
	v_fma_f32 v26, -v19, v26, s10
	v_mul_f32_e32 v26, v19, v26
	v_mul_f32_e32 v27, 0x3fb8aa3b, v26
	v_fma_f32 v32, v26, s11, -v27
	v_rndne_f32_e32 v39, v27
	v_fmac_f32_e32 v32, 0x32a5705f, v26
	v_sub_f32_e32 v27, v27, v39
	v_add_f32_e32 v27, v27, v32
	v_exp_f32_e32 v27, v27
	v_cvt_i32_f32_e32 v32, v39
	v_cndmask_b32_e32 v23, 0, v23, vcc
	v_cmp_ngt_f32_e32 vcc, s9, v25
	v_mfma_f32_32x32x2_f32 v[0:15], v55, v51, v[0:15]
	s_nop 0
	v_cndmask_b32_e32 v24, 0, v24, vcc
	v_cmp_nlt_f32_e32 vcc, s8, v25
	v_ldexp_f32 v25, v27, v32
	s_nop 0
	v_cndmask_b32_e32 v24, v33, v24, vcc
	v_cmp_ngt_f32_e32 vcc, s9, v26
	s_nop 1
	v_cndmask_b32_e32 v25, 0, v25, vcc
	v_cmp_nlt_f32_e32 vcc, s8, v26
	s_nop 1
	v_cndmask_b32_e32 v25, v33, v25, vcc
	v_add_f32_e64 v24, v24, 1.0
	v_add_f32_e64 v25, v25, 1.0
	v_cmp_nlt_f32_e32 vcc, s8, v21
	v_div_scale_f32 v26, s[22:23], v25, v25, 1.0
	v_rcp_f32_e32 v27, v26
	v_cndmask_b32_e32 v23, v33, v23, vcc
	v_pk_add_f32 v[22:23], v[22:23], 1.0 op_sel_hi:[1,0]
	v_fma_f32 v21, -v26, v27, 1.0
	v_fmac_f32_e32 v27, v21, v27
	v_div_scale_f32 v21, vcc, 1.0, v25, 1.0
	v_mul_f32_e32 v32, v21, v27
	v_fma_f32 v39, -v26, v32, v21
	v_fmac_f32_e32 v32, v39, v27
	v_fma_f32 v21, -v26, v32, v21
	v_div_scale_f32 v26, s[22:23], v24, v24, 1.0
	v_rcp_f32_e32 v39, v26
	v_div_fmas_f32 v21, v21, v27, v32
	v_div_fixup_f32 v25, v21, v25, 1.0
	v_fma_f32 v21, -v26, v39, 1.0
	v_fmac_f32_e32 v39, v21, v39
	v_div_scale_f32 v21, vcc, 1.0, v24, 1.0
	v_mul_f32_e32 v27, v21, v39
	v_fma_f32 v32, -v26, v27, v21
	v_fmac_f32_e32 v27, v32, v39
	v_fma_f32 v21, -v26, v27, v21
	v_div_scale_f32 v26, s[22:23], v23, v23, 1.0
	v_rcp_f32_e32 v32, v26
	v_div_fmas_f32 v21, v21, v39, v27
	v_div_fixup_f32 v24, v21, v24, 1.0
	v_pk_mul_f32 v[18:19], v[18:19], v[24:25]
	v_fma_f32 v21, -v26, v32, 1.0
	v_fmac_f32_e32 v32, v21, v32
	v_div_scale_f32 v21, vcc, 1.0, v23, 1.0
	v_mul_f32_e32 v27, v21, v32
	v_fma_f32 v39, -v26, v27, v21
	v_fmac_f32_e32 v27, v39, v32
	v_fma_f32 v21, -v26, v27, v21
	v_div_scale_f32 v26, s[22:23], v22, v22, 1.0
	v_rcp_f32_e32 v39, v26
	v_div_fmas_f32 v21, v21, v32, v27
	v_div_fixup_f32 v23, v21, v23, 1.0
	v_fma_f32 v21, -v26, v39, 1.0
	v_fmac_f32_e32 v39, v21, v39
	v_div_scale_f32 v21, vcc, 1.0, v22, 1.0
	v_mul_f32_e32 v27, v21, v39
	v_fma_f32 v32, -v26, v27, v21
	v_fmac_f32_e32 v27, v32, v39
	v_fma_f32 v21, -v26, v27, v21
	v_div_fmas_f32 v21, v21, v39, v27
	v_div_fixup_f32 v22, v21, v22, 1.0
	v_pk_mul_f32 v[16:17], v[16:17], v[22:23]
	v_lshlrev_b32_e32 v21, 2, v20
	buffer_store_dwordx4 v[16:19], v21, s[0:3], 0 offen
	v_add_u32_e32 v32, s18, v20
	s_waitcnt vmcnt(2) lgkmcnt(0)
	v_pk_add_f32 v[16:17], v[28:29], v[40:41]
	s_waitcnt vmcnt(1)
	v_pk_add_f32 v[24:25], v[16:17], v[44:45]
	s_nop 0
	v_mul_f32_e32 v16, 0x3d92220c, v24
	v_fma_f32 v16, -v24, v16, s10
	v_mul_f32_e32 v18, v24, v16
	v_mul_f32_e32 v16, 0x3fb8aa3b, v18
	v_fma_f32 v17, v18, s11, -v16
	v_rndne_f32_e32 v19, v16
	v_fmac_f32_e32 v17, 0x32a5705f, v18
	v_sub_f32_e32 v16, v16, v19
	v_add_f32_e32 v16, v16, v17
	v_exp_f32_e32 v21, v16
	v_cvt_i32_f32_e32 v19, v19
	v_pk_add_f32 v[16:17], v[30:31], v[42:43]
	v_cmp_ngt_f32_e32 vcc, s9, v18
	v_pk_add_f32 v[26:27], v[16:17], v[46:47]
	v_ldexp_f32 v16, v21, v19
	v_cndmask_b32_e32 v16, 0, v16, vcc
	v_cmp_nlt_f32_e32 vcc, s8, v18
	s_nop 1
	v_cndmask_b32_e32 v28, v33, v16, vcc
	v_mul_f32_e32 v16, 0x3d92220c, v25
	v_fma_f32 v16, -v25, v16, s10
	v_mul_f32_e32 v29, v25, v16
	v_mul_f32_e32 v16, 0x3fb8aa3b, v29
	v_fma_f32 v17, v29, s11, -v16
	v_rndne_f32_e32 v18, v16
	v_fmac_f32_e32 v17, 0x32a5705f, v29
	v_sub_f32_e32 v16, v16, v18
	v_add_f32_e32 v16, v16, v17
	v_cvt_i32_f32_e32 v17, v18
	v_mul_f32_e32 v18, 0x3d92220c, v26
	v_fma_f32 v18, -v26, v18, s10
	v_mul_f32_e32 v30, v26, v18
	v_mul_f32_e32 v18, 0x3fb8aa3b, v30
	v_fma_f32 v19, v30, s11, -v18
	v_rndne_f32_e32 v20, v18
	v_fmac_f32_e32 v19, 0x32a5705f, v30
	v_sub_f32_e32 v18, v18, v20
	v_exp_f32_e32 v16, v16
	v_add_f32_e32 v18, v18, v19
	v_exp_f32_e32 v18, v18
	v_cvt_i32_f32_e32 v19, v20
	v_ldexp_f32 v16, v16, v17
	v_cmp_ngt_f32_e32 vcc, s9, v29
	v_lshlrev_b32_e32 v20, 2, v36
	buffer_load_dwordx4 v[20:23], v20, s[4:7], 0 offen
	v_cndmask_b32_e32 v39, 0, v16, vcc
	v_ldexp_f32 v16, v18, v19
	v_cmp_ngt_f32_e32 vcc, s9, v30
	s_nop 1
	v_cndmask_b32_e32 v31, 0, v16, vcc
	v_mul_f32_e32 v16, 0x3d92220c, v27
	v_fma_f32 v16, -v27, v16, s10
	v_mul_f32_e32 v40, v27, v16
	v_mul_f32_e32 v16, 0x3fb8aa3b, v40
	v_fma_f32 v17, v40, s11, -v16
	v_rndne_f32_e32 v18, v16
	v_fmac_f32_e32 v17, 0x32a5705f, v40
	v_sub_f32_e32 v16, v16, v18
	v_add_f32_e32 v16, v16, v17
	v_exp_f32_e32 v41, v16
	v_lshlrev_b32_e32 v16, 2, v34
	v_cvt_i32_f32_e32 v42, v18
	buffer_load_dwordx4 v[16:19], v16, s[12:15], 0 offen
	v_cmp_nlt_f32_e32 vcc, s8, v30
	v_add_u32_e32 v34, s17, v34
	s_nop 0
	v_cndmask_b32_e32 v30, v33, v31, vcc
	v_ldexp_f32 v31, v41, v42
	v_cmp_ngt_f32_e32 vcc, s9, v40
	s_nop 1
	v_cndmask_b32_e32 v31, 0, v31, vcc
	v_cmp_nlt_f32_e32 vcc, s8, v40
	s_nop 1
	v_cndmask_b32_e32 v31, v33, v31, vcc
	v_pk_add_f32 v[30:31], v[30:31], 1.0 op_sel_hi:[1,0]
	v_cmp_nlt_f32_e32 vcc, s8, v29
	v_div_scale_f32 v40, s[22:23], v31, v31, 1.0
	v_rcp_f32_e32 v41, v40
	v_cndmask_b32_e32 v29, v33, v39, vcc
	v_pk_add_f32 v[28:29], v[28:29], 1.0 op_sel_hi:[1,0]
	v_fma_f32 v39, -v40, v41, 1.0
	v_fmac_f32_e32 v41, v39, v41
	v_div_scale_f32 v39, vcc, 1.0, v31, 1.0
	v_mul_f32_e32 v42, v39, v41
	v_fma_f32 v43, -v40, v42, v39
	v_fmac_f32_e32 v42, v43, v41
	v_fma_f32 v39, -v40, v42, v39
	v_div_scale_f32 v40, s[22:23], v30, v30, 1.0
	v_rcp_f32_e32 v43, v40
	v_div_fmas_f32 v39, v39, v41, v42
	v_div_fixup_f32 v31, v39, v31, 1.0
	v_fma_f32 v39, -v40, v43, 1.0
	v_fmac_f32_e32 v43, v39, v43
	v_div_scale_f32 v39, vcc, 1.0, v30, 1.0
	v_mul_f32_e32 v41, v39, v43
	v_fma_f32 v42, -v40, v41, v39
	v_fmac_f32_e32 v41, v42, v43
	v_fma_f32 v39, -v40, v41, v39
	v_div_scale_f32 v40, s[22:23], v29, v29, 1.0
	v_rcp_f32_e32 v42, v40
	v_div_fmas_f32 v39, v39, v43, v41
	v_div_fixup_f32 v30, v39, v30, 1.0
	v_pk_mul_f32 v[26:27], v[26:27], v[30:31]
	v_fma_f32 v39, -v40, v42, 1.0
	v_fmac_f32_e32 v42, v39, v42
	v_div_scale_f32 v39, vcc, 1.0, v29, 1.0
	v_mul_f32_e32 v41, v39, v42
	v_fma_f32 v43, -v40, v41, v39
	v_fmac_f32_e32 v41, v43, v42
	v_fma_f32 v39, -v40, v41, v39
	v_div_scale_f32 v40, s[22:23], v28, v28, 1.0
	v_rcp_f32_e32 v43, v40
	v_div_fmas_f32 v39, v39, v42, v41
	v_div_fixup_f32 v29, v39, v29, 1.0
	v_fma_f32 v39, -v40, v43, 1.0
	v_fmac_f32_e32 v43, v39, v43
	v_div_scale_f32 v39, vcc, 1.0, v28, 1.0
	v_mul_f32_e32 v41, v39, v43
	v_fma_f32 v42, -v40, v41, v39
	v_fmac_f32_e32 v41, v42, v43
	v_fma_f32 v39, -v40, v41, v39
	v_div_fmas_f32 v39, v39, v43, v41
	v_div_fixup_f32 v28, v39, v28, 1.0
	v_pk_mul_f32 v[24:25], v[24:25], v[28:29]
	v_lshlrev_b32_e32 v28, 2, v32
	buffer_store_dwordx4 v[24:27], v28, s[0:3], 0 offen
	ds_read_b128 v[24:27], v35 offset:256
	ds_read_b128 v[28:31], v35 offset:384
	v_lshlrev_b32_e32 v39, 2, v34
	buffer_load_dwordx4 v[40:43], v39, s[12:15], 0 offen
	v_add_u32_e32 v32, s18, v32
	s_waitcnt vmcnt(2) lgkmcnt(1)
	v_pk_add_f32 v[16:17], v[24:25], v[16:17]
	v_add_u32_e32 v24, s16, v36
	v_lshlrev_b32_e32 v25, 2, v24
	buffer_load_dwordx4 v[44:47], v25, s[4:7], 0 offen
	v_pk_add_f32 v[16:17], v[16:17], v[20:21]
	v_pk_add_f32 v[18:19], v[26:27], v[18:19]
	v_mul_f32_e32 v20, 0x3d92220c, v16
	v_fma_f32 v20, -v16, v20, s10
	v_mul_f32_e32 v20, v16, v20
	v_mul_f32_e32 v21, 0x3fb8aa3b, v20
	v_fma_f32 v25, v20, s11, -v21
	v_rndne_f32_e32 v36, v21
	v_fmac_f32_e32 v25, 0x32a5705f, v20
	v_sub_f32_e32 v21, v21, v36
	v_add_f32_e32 v21, v21, v25
	v_exp_f32_e32 v21, v21
	v_cvt_i32_f32_e32 v25, v36
	v_cmp_ngt_f32_e32 vcc, s9, v20
	v_pk_add_f32 v[18:19], v[18:19], v[22:23]
	v_ldexp_f32 v21, v21, v25
	v_cndmask_b32_e32 v21, 0, v21, vcc
	v_cmp_nlt_f32_e32 vcc, s8, v20
	s_nop 1
	v_cndmask_b32_e32 v20, v33, v21, vcc
	v_mul_f32_e32 v21, 0x3d92220c, v17
	v_fma_f32 v21, -v17, v21, s10
	v_mul_f32_e32 v21, v17, v21
	v_mul_f32_e32 v22, 0x3fb8aa3b, v21
	v_fma_f32 v23, v21, s11, -v22
	v_rndne_f32_e32 v25, v22
	v_fmac_f32_e32 v23, 0x32a5705f, v21
	v_sub_f32_e32 v22, v22, v25
	v_add_f32_e32 v22, v22, v23
	v_cvt_i32_f32_e32 v23, v25
	v_mul_f32_e32 v25, 0x3d92220c, v18
	v_fma_f32 v25, -v18, v25, s10
	v_mul_f32_e32 v25, v18, v25
	v_mul_f32_e32 v26, 0x3fb8aa3b, v25
	v_exp_f32_e32 v22, v22
	v_fma_f32 v27, v25, s11, -v26
	v_rndne_f32_e32 v36, v26
	v_fmac_f32_e32 v27, 0x32a5705f, v25
	v_sub_f32_e32 v26, v26, v36
	v_add_f32_e32 v26, v26, v27
	v_exp_f32_e32 v26, v26
	v_cvt_i32_f32_e32 v27, v36
	v_ldexp_f32 v22, v22, v23
	v_mul_f32_e32 v23, 0x3d92220c, v19
	v_fma_f32 v23, -v19, v23, s10
	v_cmp_ngt_f32_e32 vcc, s9, v21
	v_mul_f32_e32 v23, v19, v23
	s_nop 0
	v_cndmask_b32_e32 v36, 0, v22, vcc
	v_ldexp_f32 v22, v26, v27
	v_mul_f32_e32 v26, 0x3fb8aa3b, v23
	v_fma_f32 v27, v23, s11, -v26
	v_rndne_f32_e32 v39, v26
	v_fmac_f32_e32 v27, 0x32a5705f, v23
	v_sub_f32_e32 v26, v26, v39
	v_add_f32_e32 v26, v26, v27
	v_exp_f32_e32 v26, v26
	v_cvt_i32_f32_e32 v27, v39
	v_cmp_ngt_f32_e32 vcc, s9, v25
	s_nop 1
	v_cndmask_b32_e32 v22, 0, v22, vcc
	v_cmp_nlt_f32_e32 vcc, s8, v25
	v_ldexp_f32 v25, v26, v27
	s_nop 0
	v_cndmask_b32_e32 v22, v33, v22, vcc
	v_cmp_ngt_f32_e32 vcc, s9, v23
	s_nop 1
	v_cndmask_b32_e32 v25, 0, v25, vcc
	v_cmp_nlt_f32_e32 vcc, s8, v23
	s_nop 1
	v_cndmask_b32_e32 v23, v33, v25, vcc
	v_pk_add_f32 v[22:23], v[22:23], 1.0 op_sel_hi:[1,0]
	v_cmp_nlt_f32_e32 vcc, s8, v21
	v_div_scale_f32 v25, s[22:23], v23, v23, 1.0
	v_rcp_f32_e32 v26, v25
	v_cndmask_b32_e32 v21, v33, v36, vcc
	v_pk_add_f32 v[20:21], v[20:21], 1.0 op_sel_hi:[1,0]
	v_fma_f32 v27, -v25, v26, 1.0
	v_fmac_f32_e32 v26, v27, v26
	v_div_scale_f32 v27, vcc, 1.0, v23, 1.0
	v_mul_f32_e32 v36, v27, v26
	v_fma_f32 v39, -v25, v36, v27
	v_fmac_f32_e32 v36, v39, v26
	v_fma_f32 v25, -v25, v36, v27
	v_div_scale_f32 v27, s[22:23], v22, v22, 1.0
	v_rcp_f32_e32 v39, v27
	v_div_fmas_f32 v25, v25, v26, v36
	v_div_fixup_f32 v23, v25, v23, 1.0
	v_fma_f32 v25, -v27, v39, 1.0
	v_fmac_f32_e32 v39, v25, v39
	v_div_scale_f32 v25, vcc, 1.0, v22, 1.0
	v_mul_f32_e32 v26, v25, v39
	v_fma_f32 v36, -v27, v26, v25
	v_fmac_f32_e32 v26, v36, v39
	v_fma_f32 v25, -v27, v26, v25
	v_div_scale_f32 v27, s[22:23], v21, v21, 1.0
	v_rcp_f32_e32 v36, v27
	v_div_fmas_f32 v25, v25, v39, v26
	v_div_fixup_f32 v22, v25, v22, 1.0
	v_pk_mul_f32 v[18:19], v[18:19], v[22:23]
	v_fma_f32 v25, -v27, v36, 1.0
	v_fmac_f32_e32 v36, v25, v36
	v_div_scale_f32 v25, vcc, 1.0, v21, 1.0
	v_mul_f32_e32 v26, v25, v36
	v_fma_f32 v39, -v27, v26, v25
	v_fmac_f32_e32 v26, v39, v36
	v_fma_f32 v25, -v27, v26, v25
	v_div_scale_f32 v27, s[22:23], v20, v20, 1.0
	v_rcp_f32_e32 v39, v27
	v_div_fmas_f32 v25, v25, v36, v26
	v_div_fixup_f32 v21, v25, v21, 1.0
	v_fma_f32 v25, -v27, v39, 1.0
	v_fmac_f32_e32 v39, v25, v39
	v_div_scale_f32 v25, vcc, 1.0, v20, 1.0
	v_mul_f32_e32 v26, v25, v39
	v_fma_f32 v36, -v27, v26, v25
	v_fmac_f32_e32 v26, v36, v39
	v_fma_f32 v25, -v27, v26, v25
	v_div_fmas_f32 v25, v25, v39, v26
	v_div_fixup_f32 v20, v25, v20, 1.0
	v_pk_mul_f32 v[16:17], v[16:17], v[20:21]
	v_lshlrev_b32_e32 v20, 2, v32
	buffer_store_dwordx4 v[16:19], v20, s[0:3], 0 offen
	v_add_u32_e32 v25, s18, v32
	s_waitcnt vmcnt(2) lgkmcnt(0)
	v_pk_add_f32 v[16:17], v[28:29], v[40:41]
	s_waitcnt vmcnt(1)
	v_pk_add_f32 v[16:17], v[16:17], v[44:45]
	s_nop 0
	v_mul_f32_e32 v18, 0x3d92220c, v16
	v_fma_f32 v18, -v16, v18, s10
	v_mul_f32_e32 v20, v16, v18
	v_mul_f32_e32 v18, 0x3fb8aa3b, v20
	v_fma_f32 v19, v20, s11, -v18
	v_rndne_f32_e32 v21, v18
	v_fmac_f32_e32 v19, 0x32a5705f, v20
	v_sub_f32_e32 v18, v18, v21
	v_add_f32_e32 v18, v18, v19
	v_exp_f32_e32 v22, v18
	v_cvt_i32_f32_e32 v21, v21
	v_cmp_ngt_f32_e32 vcc, s9, v20
	v_pk_add_f32 v[18:19], v[30:31], v[42:43]
	v_ldexp_f32 v21, v22, v21
	v_cndmask_b32_e32 v21, 0, v21, vcc
	v_cmp_nlt_f32_e32 vcc, s8, v20
	v_pk_add_f32 v[18:19], v[18:19], v[46:47]
	s_nop 0
	v_cndmask_b32_e32 v20, v33, v21, vcc
	v_mul_f32_e32 v21, 0x3d92220c, v17
	v_fma_f32 v21, -v17, v21, s10
	v_mul_f32_e32 v21, v17, v21
	v_mul_f32_e32 v22, 0x3fb8aa3b, v21
	v_fma_f32 v23, v21, s11, -v22
	v_rndne_f32_e32 v26, v22
	v_fmac_f32_e32 v23, 0x32a5705f, v21
	v_sub_f32_e32 v22, v22, v26
	v_add_f32_e32 v22, v22, v23
	v_cvt_i32_f32_e32 v23, v26
	v_mul_f32_e32 v26, 0x3d92220c, v18
	v_fma_f32 v26, -v18, v26, s10
	v_mul_f32_e32 v26, v18, v26
	v_mul_f32_e32 v27, 0x3fb8aa3b, v26
	v_exp_f32_e32 v22, v22
	v_fma_f32 v28, v26, s11, -v27
	v_rndne_f32_e32 v29, v27
	v_fmac_f32_e32 v28, 0x32a5705f, v26
	v_sub_f32_e32 v27, v27, v29
	v_add_f32_e32 v27, v27, v28
	v_exp_f32_e32 v27, v27
	v_cvt_i32_f32_e32 v28, v29
	v_ldexp_f32 v22, v22, v23
	v_mul_f32_e32 v23, 0x3d92220c, v19
	v_fma_f32 v23, -v19, v23, s10
	v_cmp_ngt_f32_e32 vcc, s9, v21
	v_mul_f32_e32 v23, v19, v23
	s_nop 0
	v_cndmask_b32_e32 v29, 0, v22, vcc
	v_ldexp_f32 v22, v27, v28
	v_mul_f32_e32 v27, 0x3fb8aa3b, v23
	v_fma_f32 v28, v23, s11, -v27
	v_rndne_f32_e32 v30, v27
	v_fmac_f32_e32 v28, 0x32a5705f, v23
	v_sub_f32_e32 v27, v27, v30
	v_add_f32_e32 v27, v27, v28
	v_exp_f32_e32 v27, v27
	v_cvt_i32_f32_e32 v28, v30
	v_cmp_ngt_f32_e32 vcc, s9, v26
	s_nop 1
	v_cndmask_b32_e32 v22, 0, v22, vcc
	v_cmp_nlt_f32_e32 vcc, s8, v26
	v_ldexp_f32 v26, v27, v28
	s_nop 0
	v_cndmask_b32_e32 v22, v33, v22, vcc
	v_cmp_ngt_f32_e32 vcc, s9, v23
	s_nop 1
	v_cndmask_b32_e32 v26, 0, v26, vcc
	v_cmp_nlt_f32_e32 vcc, s8, v23
	s_nop 1
	v_cndmask_b32_e32 v23, v33, v26, vcc
	v_pk_add_f32 v[22:23], v[22:23], 1.0 op_sel_hi:[1,0]
	v_cmp_nlt_f32_e32 vcc, s8, v21
	v_div_scale_f32 v26, s[22:23], v23, v23, 1.0
	v_rcp_f32_e32 v27, v26
	v_cndmask_b32_e32 v21, v33, v29, vcc
	v_pk_add_f32 v[20:21], v[20:21], 1.0 op_sel_hi:[1,0]
	v_fma_f32 v28, -v26, v27, 1.0
	v_fmac_f32_e32 v27, v28, v27
	v_div_scale_f32 v28, vcc, 1.0, v23, 1.0
	v_mul_f32_e32 v29, v28, v27
	v_fma_f32 v30, -v26, v29, v28
	v_fmac_f32_e32 v29, v30, v27
	v_fma_f32 v26, -v26, v29, v28
	v_div_scale_f32 v28, s[22:23], v22, v22, 1.0
	v_rcp_f32_e32 v30, v28
	v_div_fmas_f32 v26, v26, v27, v29
	v_div_fixup_f32 v23, v26, v23, 1.0
	v_fma_f32 v26, -v28, v30, 1.0
	v_fmac_f32_e32 v30, v26, v30
	v_div_scale_f32 v26, vcc, 1.0, v22, 1.0
	v_mul_f32_e32 v27, v26, v30
	v_fma_f32 v29, -v28, v27, v26
	v_fmac_f32_e32 v27, v29, v30
	v_fma_f32 v26, -v28, v27, v26
	v_div_scale_f32 v28, s[22:23], v21, v21, 1.0
	v_rcp_f32_e32 v29, v28
	v_div_fmas_f32 v26, v26, v30, v27
	v_div_fixup_f32 v22, v26, v22, 1.0
	v_pk_mul_f32 v[18:19], v[18:19], v[22:23]
	v_fma_f32 v26, -v28, v29, 1.0
	v_fmac_f32_e32 v29, v26, v29
	v_div_scale_f32 v26, vcc, 1.0, v21, 1.0
	v_mul_f32_e32 v27, v26, v29
	v_fma_f32 v30, -v28, v27, v26
	v_fmac_f32_e32 v27, v30, v29
	v_fma_f32 v26, -v28, v27, v26
	v_div_scale_f32 v28, s[22:23], v20, v20, 1.0
	v_rcp_f32_e32 v30, v28
	v_div_fmas_f32 v26, v26, v29, v27
	v_div_fixup_f32 v21, v26, v21, 1.0
	v_fma_f32 v26, -v28, v30, 1.0
	v_fmac_f32_e32 v30, v26, v30
	v_div_scale_f32 v26, vcc, 1.0, v20, 1.0
	v_mul_f32_e32 v27, v26, v30
	v_fma_f32 v29, -v28, v27, v26
	v_fmac_f32_e32 v27, v29, v30
	v_fma_f32 v26, -v28, v27, v26
	v_div_fmas_f32 v26, v26, v30, v27
	v_div_fixup_f32 v20, v26, v20, 1.0
	v_pk_mul_f32 v[16:17], v[16:17], v[20:21]
	v_lshlrev_b32_e32 v20, 2, v25
	buffer_store_dwordx4 v[16:19], v20, s[0:3], 0 offen
	s_waitcnt lgkmcnt(0)
	; wave barrier
	ds_write2_b32 v144, v0, v1 offset1:32
	ds_write2_b32 v144, v2, v3 offset0:64 offset1:96
	ds_write2_b32 v145, v6, v7 offset0:64 offset1:96
	ds_write2_b32 v145, v4, v5 offset1:32
	ds_write2_b32 v37, v8, v9 offset1:32
	ds_write2_b32 v37, v10, v11 offset0:64 offset1:96
	ds_write2_b32 v38, v14, v15 offset0:64 offset1:96
	ds_write2_b32 v38, v12, v13 offset1:32
	v_add_u32_e32 v16, s20, v34
	v_lshlrev_b32_e32 v0, 2, v16
	v_add_u32_e32 v20, s19, v24
	s_waitcnt lgkmcnt(0)
	; wave barrier
	buffer_load_dwordx4 v[0:3], v0, s[12:15], 0 offen
	v_lshlrev_b32_e32 v4, 2, v20
	buffer_load_dwordx4 v[4:7], v4, s[4:7], 0 offen
	ds_read_b128 v[8:11], v35
	ds_read_b128 v[12:15], v35 offset:128
	v_add_u32_e32 v24, s17, v16
	v_lshlrev_b32_e32 v16, 2, v24
	v_add_u32_e32 v26, s16, v20
	buffer_load_dwordx4 v[16:19], v16, s[12:15], 0 offen
	s_sub_i32 s19, s21, 32
	v_add_u32_e32 v25, s19, v25
	s_waitcnt vmcnt(2) lgkmcnt(1)
	v_pk_add_f32 v[0:1], v[8:9], v[0:1]
	v_lshlrev_b32_e32 v8, 2, v26
	buffer_load_dwordx4 v[20:23], v8, s[4:7], 0 offen
	s_waitcnt vmcnt(2)
	v_pk_add_f32 v[0:1], v[0:1], v[4:5]
	v_pk_add_f32 v[2:3], v[10:11], v[2:3]
	v_mul_f32_e32 v4, 0x3d92220c, v0
	v_fma_f32 v4, -v0, v4, s10
	v_mul_f32_e32 v4, v0, v4
	v_mul_f32_e32 v5, 0x3fb8aa3b, v4
	v_fma_f32 v8, v4, s11, -v5
	v_rndne_f32_e32 v9, v5
	v_fmac_f32_e32 v8, 0x32a5705f, v4
	v_sub_f32_e32 v5, v5, v9
	v_add_f32_e32 v5, v5, v8
	v_exp_f32_e32 v5, v5
	v_cvt_i32_f32_e32 v8, v9
	v_cmp_ngt_f32_e32 vcc, s9, v4
	v_pk_add_f32 v[2:3], v[2:3], v[6:7]
	v_ldexp_f32 v5, v5, v8
	v_cndmask_b32_e32 v5, 0, v5, vcc
	v_cmp_nlt_f32_e32 vcc, s8, v4
	s_nop 1
	v_cndmask_b32_e32 v4, v33, v5, vcc
	v_mul_f32_e32 v5, 0x3d92220c, v1
	v_fma_f32 v5, -v1, v5, s10
	v_mul_f32_e32 v5, v1, v5
	v_mul_f32_e32 v6, 0x3fb8aa3b, v5
	v_fma_f32 v7, v5, s11, -v6
	v_rndne_f32_e32 v8, v6
	v_fmac_f32_e32 v7, 0x32a5705f, v5
	v_sub_f32_e32 v6, v6, v8
	v_add_f32_e32 v6, v6, v7
	v_cvt_i32_f32_e32 v7, v8
	v_mul_f32_e32 v8, 0x3d92220c, v2
	v_fma_f32 v8, -v2, v8, s10
	v_mul_f32_e32 v8, v2, v8
	v_mul_f32_e32 v9, 0x3fb8aa3b, v8
	v_exp_f32_e32 v6, v6
	v_fma_f32 v10, v8, s11, -v9
	v_rndne_f32_e32 v11, v9
	v_fmac_f32_e32 v10, 0x32a5705f, v8
	v_sub_f32_e32 v9, v9, v11
	v_add_f32_e32 v9, v9, v10
	v_exp_f32_e32 v9, v9
	v_cvt_i32_f32_e32 v10, v11
	v_ldexp_f32 v6, v6, v7
	v_mul_f32_e32 v7, 0x3d92220c, v3
	v_fma_f32 v7, -v3, v7, s10
	v_cmp_ngt_f32_e32 vcc, s9, v5
	v_mul_f32_e32 v7, v3, v7
	s_nop 0
	v_cndmask_b32_e32 v11, 0, v6, vcc
	v_ldexp_f32 v6, v9, v10
	v_mul_f32_e32 v9, 0x3fb8aa3b, v7
	v_fma_f32 v10, v7, s11, -v9
	v_rndne_f32_e32 v27, v9
	v_fmac_f32_e32 v10, 0x32a5705f, v7
	v_sub_f32_e32 v9, v9, v27
	v_add_f32_e32 v9, v9, v10
	v_exp_f32_e32 v9, v9
	v_cvt_i32_f32_e32 v10, v27
	v_cmp_ngt_f32_e32 vcc, s9, v8
	s_nop 1
	v_cndmask_b32_e32 v6, 0, v6, vcc
	v_cmp_nlt_f32_e32 vcc, s8, v8
	v_ldexp_f32 v8, v9, v10
	s_nop 0
	v_cndmask_b32_e32 v6, v33, v6, vcc
	v_cmp_ngt_f32_e32 vcc, s9, v7
	s_nop 1
	v_cndmask_b32_e32 v8, 0, v8, vcc
	v_cmp_nlt_f32_e32 vcc, s8, v7
	s_nop 1
	v_cndmask_b32_e32 v7, v33, v8, vcc
	v_pk_add_f32 v[6:7], v[6:7], 1.0 op_sel_hi:[1,0]
	v_cmp_nlt_f32_e32 vcc, s8, v5
	v_div_scale_f32 v8, s[20:21], v7, v7, 1.0
	v_rcp_f32_e32 v9, v8
	v_cndmask_b32_e32 v5, v33, v11, vcc
	v_pk_add_f32 v[4:5], v[4:5], 1.0 op_sel_hi:[1,0]
	v_fma_f32 v10, -v8, v9, 1.0
	v_fmac_f32_e32 v9, v10, v9
	v_div_scale_f32 v10, vcc, 1.0, v7, 1.0
	v_mul_f32_e32 v11, v10, v9
	v_fma_f32 v27, -v8, v11, v10
	v_fmac_f32_e32 v11, v27, v9
	v_fma_f32 v8, -v8, v11, v10
	v_div_scale_f32 v10, s[20:21], v6, v6, 1.0
	v_rcp_f32_e32 v27, v10
	v_div_fmas_f32 v8, v8, v9, v11
	v_div_fixup_f32 v7, v8, v7, 1.0
	v_fma_f32 v8, -v10, v27, 1.0
	v_fmac_f32_e32 v27, v8, v27
	v_div_scale_f32 v8, vcc, 1.0, v6, 1.0
	v_mul_f32_e32 v9, v8, v27
	v_fma_f32 v11, -v10, v9, v8
	v_fmac_f32_e32 v9, v11, v27
	v_fma_f32 v8, -v10, v9, v8
	v_div_scale_f32 v10, s[20:21], v5, v5, 1.0
	v_rcp_f32_e32 v11, v10
	v_div_fmas_f32 v8, v8, v27, v9
	v_div_fixup_f32 v6, v8, v6, 1.0
	v_pk_mul_f32 v[2:3], v[2:3], v[6:7]
	v_fma_f32 v8, -v10, v11, 1.0
	v_fmac_f32_e32 v11, v8, v11
	v_div_scale_f32 v8, vcc, 1.0, v5, 1.0
	v_mul_f32_e32 v9, v8, v11
	v_fma_f32 v27, -v10, v9, v8
	v_fmac_f32_e32 v9, v27, v11
	v_fma_f32 v8, -v10, v9, v8
	v_div_scale_f32 v10, s[20:21], v4, v4, 1.0
	v_rcp_f32_e32 v27, v10
	v_div_fmas_f32 v8, v8, v11, v9
	v_div_fixup_f32 v5, v8, v5, 1.0
	v_fma_f32 v8, -v10, v27, 1.0
	v_fmac_f32_e32 v27, v8, v27
	v_div_scale_f32 v8, vcc, 1.0, v4, 1.0
	v_mul_f32_e32 v9, v8, v27
	v_fma_f32 v11, -v10, v9, v8
	v_fmac_f32_e32 v9, v11, v27
	v_fma_f32 v8, -v10, v9, v8
	v_div_fmas_f32 v8, v8, v27, v9
	v_div_fixup_f32 v4, v8, v4, 1.0
	v_pk_mul_f32 v[0:1], v[0:1], v[4:5]
	v_lshlrev_b32_e32 v4, 2, v25
	buffer_store_dwordx4 v[0:3], v4, s[0:3], 0 offen
	v_add_u32_e32 v25, s18, v25
	s_waitcnt vmcnt(2) lgkmcnt(0)
	v_pk_add_f32 v[0:1], v[12:13], v[16:17]
	s_waitcnt vmcnt(1)
	v_pk_add_f32 v[8:9], v[0:1], v[20:21]
	v_add_u32_e32 v20, s17, v24
	v_mul_f32_e32 v0, 0x3d92220c, v8
	v_fma_f32 v0, -v8, v0, s10
	v_mul_f32_e32 v2, v8, v0
	v_mul_f32_e32 v0, 0x3fb8aa3b, v2
	v_fma_f32 v1, v2, s11, -v0
	v_rndne_f32_e32 v3, v0
	v_fmac_f32_e32 v1, 0x32a5705f, v2
	v_sub_f32_e32 v0, v0, v3
	v_add_f32_e32 v0, v0, v1
	v_exp_f32_e32 v4, v0
	v_cvt_i32_f32_e32 v3, v3
	v_pk_add_f32 v[0:1], v[14:15], v[18:19]
	v_cmp_ngt_f32_e32 vcc, s9, v2
	v_pk_add_f32 v[10:11], v[0:1], v[22:23]
	v_ldexp_f32 v0, v4, v3
	v_cndmask_b32_e32 v0, 0, v0, vcc
	v_cmp_nlt_f32_e32 vcc, s8, v2
	v_add_u32_e32 v21, s16, v26
	s_nop 0
	v_cndmask_b32_e32 v12, v33, v0, vcc
	v_mul_f32_e32 v0, 0x3d92220c, v9
	v_fma_f32 v0, -v9, v0, s10
	v_mul_f32_e32 v13, v9, v0
	v_mul_f32_e32 v0, 0x3fb8aa3b, v13
	v_fma_f32 v1, v13, s11, -v0
	v_rndne_f32_e32 v2, v0
	v_fmac_f32_e32 v1, 0x32a5705f, v13
	v_sub_f32_e32 v0, v0, v2
	v_add_f32_e32 v0, v0, v1
	v_cvt_i32_f32_e32 v1, v2
	v_mul_f32_e32 v2, 0x3d92220c, v10
	v_fma_f32 v2, -v10, v2, s10
	v_exp_f32_e32 v0, v0
	v_mul_f32_e32 v14, v10, v2
	v_mul_f32_e32 v2, 0x3fb8aa3b, v14
	v_fma_f32 v3, v14, s11, -v2
	v_rndne_f32_e32 v4, v2
	v_fmac_f32_e32 v3, 0x32a5705f, v14
	v_sub_f32_e32 v2, v2, v4
	v_add_f32_e32 v2, v2, v3
	v_ldexp_f32 v0, v0, v1
	v_cmp_ngt_f32_e32 vcc, s9, v13
	v_exp_f32_e32 v2, v2
	v_cvt_i32_f32_e32 v3, v4
	v_cndmask_b32_e32 v16, 0, v0, vcc
	v_mul_f32_e32 v0, 0x3d92220c, v11
	v_fma_f32 v0, -v11, v0, s10
	v_mul_f32_e32 v17, v11, v0
	v_mul_f32_e32 v0, 0x3fb8aa3b, v17
	v_ldexp_f32 v15, v2, v3
	v_fma_f32 v1, v17, s11, -v0
	v_rndne_f32_e32 v2, v0
	v_fmac_f32_e32 v1, 0x32a5705f, v17
	v_sub_f32_e32 v0, v0, v2
	v_add_f32_e32 v0, v0, v1
	v_exp_f32_e32 v18, v0
	v_lshlrev_b32_e32 v0, 2, v20
	v_cvt_i32_f32_e32 v19, v2
	buffer_load_dwordx4 v[0:3], v0, s[12:15], 0 offen
	v_lshlrev_b32_e32 v4, 2, v21
	buffer_load_dwordx4 v[4:7], v4, s[4:7], 0 offen
	v_cmp_ngt_f32_e32 vcc, s9, v14
	s_nop 1
	v_cndmask_b32_e32 v15, 0, v15, vcc
	v_cmp_nlt_f32_e32 vcc, s8, v14
	s_nop 1
	v_cndmask_b32_e32 v14, v33, v15, vcc
	v_ldexp_f32 v15, v18, v19
	v_cmp_ngt_f32_e32 vcc, s9, v17
	s_nop 1
	v_cndmask_b32_e32 v15, 0, v15, vcc
	v_cmp_nlt_f32_e32 vcc, s8, v17
	s_nop 1
	v_cndmask_b32_e32 v15, v33, v15, vcc
	v_pk_add_f32 v[14:15], v[14:15], 1.0 op_sel_hi:[1,0]
	v_cmp_nlt_f32_e32 vcc, s8, v13
	v_div_scale_f32 v17, s[20:21], v15, v15, 1.0
	v_rcp_f32_e32 v18, v17
	v_cndmask_b32_e32 v13, v33, v16, vcc
	v_pk_add_f32 v[12:13], v[12:13], 1.0 op_sel_hi:[1,0]
	v_fma_f32 v16, -v17, v18, 1.0
	v_fmac_f32_e32 v18, v16, v18
	v_div_scale_f32 v16, vcc, 1.0, v15, 1.0
	v_mul_f32_e32 v19, v16, v18
	v_fma_f32 v22, -v17, v19, v16
	v_fmac_f32_e32 v19, v22, v18
	v_fma_f32 v16, -v17, v19, v16
	v_div_scale_f32 v17, s[20:21], v14, v14, 1.0
	v_rcp_f32_e32 v22, v17
	v_div_fmas_f32 v16, v16, v18, v19
	v_div_fixup_f32 v15, v16, v15, 1.0
	v_fma_f32 v16, -v17, v22, 1.0
	v_fmac_f32_e32 v22, v16, v22
	v_div_scale_f32 v16, vcc, 1.0, v14, 1.0
	v_mul_f32_e32 v18, v16, v22
	v_fma_f32 v19, -v17, v18, v16
	v_fmac_f32_e32 v18, v19, v22
	v_fma_f32 v16, -v17, v18, v16
	v_div_scale_f32 v17, s[20:21], v13, v13, 1.0
	v_rcp_f32_e32 v19, v17
	v_div_fmas_f32 v16, v16, v22, v18
	v_div_fixup_f32 v14, v16, v14, 1.0
	v_pk_mul_f32 v[10:11], v[10:11], v[14:15]
	v_fma_f32 v16, -v17, v19, 1.0
	v_fmac_f32_e32 v19, v16, v19
	v_div_scale_f32 v16, vcc, 1.0, v13, 1.0
	v_mul_f32_e32 v18, v16, v19
	v_fma_f32 v22, -v17, v18, v16
	v_fmac_f32_e32 v18, v22, v19
	v_fma_f32 v16, -v17, v18, v16
	v_div_scale_f32 v17, s[20:21], v12, v12, 1.0
	v_rcp_f32_e32 v22, v17
	v_div_fmas_f32 v16, v16, v19, v18
	v_div_fixup_f32 v13, v16, v13, 1.0
	v_fma_f32 v16, -v17, v22, 1.0
	v_fmac_f32_e32 v22, v16, v22
	v_div_scale_f32 v16, vcc, 1.0, v12, 1.0
	v_mul_f32_e32 v18, v16, v22
	v_fma_f32 v19, -v17, v18, v16
	v_fmac_f32_e32 v18, v19, v22
	v_fma_f32 v16, -v17, v18, v16
	v_div_fmas_f32 v16, v16, v22, v18
	v_div_fixup_f32 v12, v16, v12, 1.0
	v_pk_mul_f32 v[8:9], v[8:9], v[12:13]
	ds_read_b128 v[12:15], v35 offset:256
	v_lshlrev_b32_e32 v16, 2, v25
	buffer_store_dwordx4 v[8:11], v16, s[0:3], 0 offen
	v_add_lshl_u32 v16, v20, s17, 2
	ds_read_b128 v[8:11], v35 offset:384
	buffer_load_dwordx4 v[16:19], v16, s[12:15], 0 offen
	s_waitcnt vmcnt(3) lgkmcnt(1)
	v_pk_add_f32 v[0:1], v[12:13], v[0:1]
	v_add_lshl_u32 v12, v21, s16, 2
	buffer_load_dwordx4 v[20:23], v12, s[4:7], 0 offen
	s_waitcnt vmcnt(3)
	v_pk_add_f32 v[0:1], v[0:1], v[4:5]
	v_pk_add_f32 v[2:3], v[14:15], v[2:3]
	v_mul_f32_e32 v4, 0x3d92220c, v0
	v_fma_f32 v4, -v0, v4, s10
	v_mul_f32_e32 v4, v0, v4
	v_mul_f32_e32 v5, 0x3fb8aa3b, v4
	v_fma_f32 v12, v4, s11, -v5
	v_rndne_f32_e32 v13, v5
	v_fmac_f32_e32 v12, 0x32a5705f, v4
	v_sub_f32_e32 v5, v5, v13
	v_add_f32_e32 v5, v5, v12
	v_exp_f32_e32 v5, v5
	v_cvt_i32_f32_e32 v12, v13
	v_cmp_ngt_f32_e32 vcc, s9, v4
	v_pk_add_f32 v[2:3], v[2:3], v[6:7]
	v_add_u32_e32 v13, s18, v25
	v_ldexp_f32 v5, v5, v12
	v_cndmask_b32_e32 v5, 0, v5, vcc
	v_cmp_nlt_f32_e32 vcc, s8, v4
	s_nop 1
	v_cndmask_b32_e32 v4, v33, v5, vcc
	v_mul_f32_e32 v5, 0x3d92220c, v1
	v_fma_f32 v5, -v1, v5, s10
	v_mul_f32_e32 v5, v1, v5
	v_mul_f32_e32 v6, 0x3fb8aa3b, v5
	v_fma_f32 v7, v5, s11, -v6
	v_rndne_f32_e32 v12, v6
	v_fmac_f32_e32 v7, 0x32a5705f, v5
	v_sub_f32_e32 v6, v6, v12
	v_add_f32_e32 v6, v6, v7
	v_cvt_i32_f32_e32 v7, v12
	v_mul_f32_e32 v12, 0x3d92220c, v2
	v_fma_f32 v12, -v2, v12, s10
	v_mul_f32_e32 v12, v2, v12
	v_mul_f32_e32 v14, 0x3fb8aa3b, v12
	v_exp_f32_e32 v6, v6
	v_fma_f32 v15, v12, s11, -v14
	v_rndne_f32_e32 v24, v14
	v_fmac_f32_e32 v15, 0x32a5705f, v12
	v_sub_f32_e32 v14, v14, v24
	v_add_f32_e32 v14, v14, v15
	v_exp_f32_e32 v14, v14
	v_cvt_i32_f32_e32 v15, v24
	v_ldexp_f32 v6, v6, v7
	v_mul_f32_e32 v7, 0x3d92220c, v3
	v_fma_f32 v7, -v3, v7, s10
	v_cmp_ngt_f32_e32 vcc, s9, v5
	v_mul_f32_e32 v7, v3, v7
	s_nop 0
	v_cndmask_b32_e32 v24, 0, v6, vcc
	v_ldexp_f32 v6, v14, v15
	v_mul_f32_e32 v14, 0x3fb8aa3b, v7
	v_fma_f32 v15, v7, s11, -v14
	v_rndne_f32_e32 v25, v14
	v_fmac_f32_e32 v15, 0x32a5705f, v7
	v_sub_f32_e32 v14, v14, v25
	v_add_f32_e32 v14, v14, v15
	v_exp_f32_e32 v14, v14
	v_cvt_i32_f32_e32 v15, v25
	v_cmp_ngt_f32_e32 vcc, s9, v12
	s_nop 1
	v_cndmask_b32_e32 v6, 0, v6, vcc
	v_cmp_nlt_f32_e32 vcc, s8, v12
	v_ldexp_f32 v12, v14, v15
	s_nop 0
	v_cndmask_b32_e32 v6, v33, v6, vcc
	v_cmp_ngt_f32_e32 vcc, s9, v7
	s_nop 1
	v_cndmask_b32_e32 v12, 0, v12, vcc
	v_cmp_nlt_f32_e32 vcc, s8, v7
	s_nop 1
	v_cndmask_b32_e32 v7, v33, v12, vcc
	v_pk_add_f32 v[6:7], v[6:7], 1.0 op_sel_hi:[1,0]
	v_cmp_nlt_f32_e32 vcc, s8, v5
	v_div_scale_f32 v12, s[4:5], v7, v7, 1.0
	v_rcp_f32_e32 v14, v12
	v_cndmask_b32_e32 v5, v33, v24, vcc
	v_pk_add_f32 v[4:5], v[4:5], 1.0 op_sel_hi:[1,0]
	v_fma_f32 v15, -v12, v14, 1.0
	v_fmac_f32_e32 v14, v15, v14
	v_div_scale_f32 v15, vcc, 1.0, v7, 1.0
	v_mul_f32_e32 v24, v15, v14
	v_fma_f32 v25, -v12, v24, v15
	v_fmac_f32_e32 v24, v25, v14
	v_fma_f32 v12, -v12, v24, v15
	v_div_scale_f32 v15, s[4:5], v6, v6, 1.0
	v_rcp_f32_e32 v25, v15
	v_div_fmas_f32 v12, v12, v14, v24
	v_div_fixup_f32 v7, v12, v7, 1.0
	v_fma_f32 v12, -v15, v25, 1.0
	v_fmac_f32_e32 v25, v12, v25
	v_div_scale_f32 v12, vcc, 1.0, v6, 1.0
	v_mul_f32_e32 v14, v12, v25
	v_fma_f32 v24, -v15, v14, v12
	v_fmac_f32_e32 v14, v24, v25
	v_fma_f32 v12, -v15, v14, v12
	v_div_scale_f32 v15, s[4:5], v5, v5, 1.0
	v_rcp_f32_e32 v24, v15
	v_div_fmas_f32 v12, v12, v25, v14
	v_div_fixup_f32 v6, v12, v6, 1.0
	v_pk_mul_f32 v[2:3], v[2:3], v[6:7]
	v_fma_f32 v12, -v15, v24, 1.0
	v_fmac_f32_e32 v24, v12, v24
	v_div_scale_f32 v12, vcc, 1.0, v5, 1.0
	v_mul_f32_e32 v14, v12, v24
	v_fma_f32 v25, -v15, v14, v12
	v_fmac_f32_e32 v14, v25, v24
	v_fma_f32 v12, -v15, v14, v12
	v_div_scale_f32 v15, s[4:5], v4, v4, 1.0
	v_rcp_f32_e32 v25, v15
	v_div_fmas_f32 v12, v12, v24, v14
	v_div_fixup_f32 v5, v12, v5, 1.0
	v_lshlrev_b32_e32 v6, 2, v13
	v_fma_f32 v12, -v15, v25, 1.0
	v_fmac_f32_e32 v25, v12, v25
	v_div_scale_f32 v12, vcc, 1.0, v4, 1.0
	v_mul_f32_e32 v14, v12, v25
	v_fma_f32 v24, -v15, v14, v12
	v_fmac_f32_e32 v14, v24, v25
	v_fma_f32 v12, -v15, v14, v12
	v_div_fmas_f32 v12, v12, v25, v14
	v_div_fixup_f32 v4, v12, v4, 1.0
	v_pk_mul_f32 v[0:1], v[0:1], v[4:5]
	s_waitcnt vmcnt(1) lgkmcnt(0)
	v_pk_add_f32 v[4:5], v[8:9], v[16:17]
	buffer_store_dwordx4 v[0:3], v6, s[0:3], 0 offen
	s_waitcnt vmcnt(1)
	v_pk_add_f32 v[4:5], v[4:5], v[20:21]
	s_nop 0
	v_mul_f32_e32 v7, 0x3d92220c, v4
	v_fma_f32 v7, -v4, v7, s10
	v_mul_f32_e32 v7, v4, v7
	v_mul_f32_e32 v8, 0x3fb8aa3b, v7
	v_fma_f32 v9, v7, s11, -v8
	v_rndne_f32_e32 v12, v8
	v_fmac_f32_e32 v9, 0x32a5705f, v7
	v_sub_f32_e32 v8, v8, v12
	v_add_f32_e32 v8, v8, v9
	v_exp_f32_e32 v8, v8
	v_cvt_i32_f32_e32 v9, v12
	v_mul_f32_e32 v3, 0x3d92220c, v5
	v_fma_f32 v3, -v5, v3, s10
	v_mul_f32_e32 v3, v5, v3
	v_ldexp_f32 v2, v8, v9
	v_cmp_ngt_f32_e32 vcc, s9, v7
	v_mul_f32_e32 v6, 0x3fb8aa3b, v3
	v_pk_add_f32 v[0:1], v[10:11], v[18:19]
	v_cndmask_b32_e32 v2, 0, v2, vcc
	v_cmp_nlt_f32_e32 vcc, s8, v7
	v_fma_f32 v7, v3, s11, -v6
	v_rndne_f32_e32 v8, v6
	v_pk_add_f32 v[0:1], v[0:1], v[22:23]
	v_fmac_f32_e32 v7, 0x32a5705f, v3
	v_sub_f32_e32 v6, v6, v8
	v_add_f32_e32 v6, v6, v7
	v_cvt_i32_f32_e32 v7, v8
	v_mul_f32_e32 v8, 0x3d92220c, v0
	v_fma_f32 v8, -v0, v8, s10
	v_mul_f32_e32 v8, v0, v8
	v_mul_f32_e32 v9, 0x3fb8aa3b, v8
	v_exp_f32_e32 v6, v6
	v_fma_f32 v10, v8, s11, -v9
	v_rndne_f32_e32 v11, v9
	v_fmac_f32_e32 v10, 0x32a5705f, v8
	v_sub_f32_e32 v9, v9, v11
	v_add_f32_e32 v9, v9, v10
	v_exp_f32_e32 v9, v9
	v_cvt_i32_f32_e32 v10, v11
	v_ldexp_f32 v6, v6, v7
	v_mul_f32_e32 v7, 0x3d92220c, v1
	v_fma_f32 v7, -v1, v7, s10
	v_cndmask_b32_e32 v2, v33, v2, vcc
	v_cmp_ngt_f32_e32 vcc, s9, v3
	v_mul_f32_e32 v7, v1, v7
	s_nop 0
	v_cndmask_b32_e32 v11, 0, v6, vcc
	v_ldexp_f32 v6, v9, v10
	v_mul_f32_e32 v9, 0x3fb8aa3b, v7
	v_fma_f32 v10, v7, s11, -v9
	v_rndne_f32_e32 v12, v9
	v_fmac_f32_e32 v10, 0x32a5705f, v7
	v_sub_f32_e32 v9, v9, v12
	v_add_f32_e32 v9, v9, v10
	v_exp_f32_e32 v9, v9
	v_cvt_i32_f32_e32 v10, v12
	v_cmp_ngt_f32_e32 vcc, s9, v8
	s_nop 1
	v_cndmask_b32_e32 v6, 0, v6, vcc
	v_cmp_nlt_f32_e32 vcc, s8, v8
	v_ldexp_f32 v8, v9, v10
	s_nop 0
	v_cndmask_b32_e32 v6, v33, v6, vcc
	v_cmp_ngt_f32_e32 vcc, s9, v7
	s_nop 1
	v_cndmask_b32_e32 v8, 0, v8, vcc
	v_cmp_nlt_f32_e32 vcc, s8, v7
	s_nop 1
	v_cndmask_b32_e32 v7, v33, v8, vcc
	v_pk_add_f32 v[6:7], v[6:7], 1.0 op_sel_hi:[1,0]
	v_cmp_nlt_f32_e32 vcc, s8, v3
	v_div_scale_f32 v8, s[4:5], v7, v7, 1.0
	v_rcp_f32_e32 v9, v8
	v_cndmask_b32_e32 v3, v33, v11, vcc
	v_pk_add_f32 v[2:3], v[2:3], 1.0 op_sel_hi:[1,0]
	v_fma_f32 v10, -v8, v9, 1.0
	v_fmac_f32_e32 v9, v10, v9
	v_div_scale_f32 v10, vcc, 1.0, v7, 1.0
	v_mul_f32_e32 v11, v10, v9
	v_fma_f32 v12, -v8, v11, v10
	v_fmac_f32_e32 v11, v12, v9
	v_fma_f32 v8, -v8, v11, v10
	v_div_scale_f32 v10, s[4:5], v6, v6, 1.0
	v_rcp_f32_e32 v12, v10
	v_div_fmas_f32 v8, v8, v9, v11
	v_div_fixup_f32 v7, v8, v7, 1.0
	v_fma_f32 v8, -v10, v12, 1.0
	v_fmac_f32_e32 v12, v8, v12
	v_div_scale_f32 v8, vcc, 1.0, v6, 1.0
	v_mul_f32_e32 v9, v8, v12
	v_fma_f32 v11, -v10, v9, v8
	v_fmac_f32_e32 v9, v11, v12
	v_fma_f32 v8, -v10, v9, v8
	v_div_scale_f32 v10, s[4:5], v3, v3, 1.0
	v_rcp_f32_e32 v11, v10
	v_div_fmas_f32 v8, v8, v12, v9
	v_div_fixup_f32 v6, v8, v6, 1.0
	;; [unrolled: 11-line block ×3, first 2 shown]
	v_fma_f32 v3, -v10, v12, 1.0
	v_fmac_f32_e32 v12, v3, v12
	v_div_scale_f32 v3, vcc, 1.0, v2, 1.0
	v_mul_f32_e32 v8, v3, v12
	v_fma_f32 v11, -v10, v8, v3
	v_fmac_f32_e32 v8, v11, v12
	v_fma_f32 v3, -v10, v8, v3
	v_div_fmas_f32 v3, v3, v12, v8
	v_div_fixup_f32 v8, v3, v2, 1.0
	v_pk_mul_f32 v[2:3], v[0:1], v[6:7]
	v_pk_mul_f32 v[0:1], v[4:5], v[8:9]
	v_add_lshl_u32 v4, v13, s18, 2
	buffer_store_dwordx4 v[0:3], v4, s[0:3], 0 offen
	s_endpgm
	.section	.rodata,"a",@progbits
	.p2align	6, 0x0
	.amdhsa_kernel _ZN2ck51kernel_gemm_multiple_d_xdl_cshuffle_lds_direct_loadINS_48GridwiseGemmMultipleD_Xdl_CShuffle_LdsDirectLoadINS_13tensor_layout4gemm8RowMajorENS3_11ColumnMajorENS_5TupleIJS4_S4_EEES4_fffffNS6_IJffEEEfNS_16tensor_operation12element_wise11PassThroughESB_NSA_14AddAddFastGeluELNS_25InMemoryDataOperationEnumE0ELNS9_6device18GemmSpecializationE0ELi1ELi64ELi64ELi64ELi64ELi8ELi8ELi32ELi32ELi2ELi2ENS_8SequenceIJLi8ELi1ELi8EEEENSG_IJLi1ELi0ELi2EEEELi2ELi1ELi0ESH_SI_Li2ELi1ELi0ELi1ELi1ENSG_IJLi1ELi8ELi1ELi8EEEELi4ELNS_13LoopSchedulerE0ELNS_15PipelineVersionE2EfEEffNS6_IJPKfSO_EEEfSB_SB_SC_NS_16TensorDescriptorINS6_IJNS_5EmbedINS6_IJiiEEENS6_IJiNS_17integral_constantIiLi1EEEEEELb0EEENS_11PassThroughIiEESY_NS_7UnMergeINS6_IJiNST_IiLi8EEEEEELb0EEESY_EEENS6_IJNSG_IJLi0EEEENSG_IJLi1EEEENSG_IJLi2EEEENSG_IJLi4EEEENSG_IJLi3EEEEEEENS6_IJNSG_IJLi1ELi2EEEES18_S17_NSG_IJLi5ELi6EEEENSG_IJLi7EEEEEEENSG_IJLi5ELi7ELi6EEEElEES1F_NS6_IJNSQ_INS6_IJSW_SY_SY_NSZ_INS6_IJiNST_IiLi64EEEEEELb0EEES1I_EEENS6_IJS14_S15_S16_S18_S17_EEENS6_IJS1A_S18_S17_S1B_NSG_IJLi7ELi8EEEEEEENSG_IJLi5ELi6ELi7ELi8EEEElEES1O_EEES1O_NS_31BlockToCTileMap_M00_N0_M01AdaptILi64ELi64ENSQ_INS6_IJSW_SY_SY_EEENS6_IJS14_S15_S16_EEENS6_IJS1A_S18_S17_EEENSG_IJLi3ELi4EEEElEEiEELb0ELi2EEEvPKT0_PKT1_T2_PT3_T4_T5_T6_T7_T8_T9_T10_T11_
		.amdhsa_group_segment_fixed_size 32768
		.amdhsa_private_segment_fixed_size 0
		.amdhsa_kernarg_size 364
		.amdhsa_user_sgpr_count 2
		.amdhsa_user_sgpr_dispatch_ptr 0
		.amdhsa_user_sgpr_queue_ptr 0
		.amdhsa_user_sgpr_kernarg_segment_ptr 1
		.amdhsa_user_sgpr_dispatch_id 0
		.amdhsa_user_sgpr_kernarg_preload_length 0
		.amdhsa_user_sgpr_kernarg_preload_offset 0
		.amdhsa_user_sgpr_private_segment_size 0
		.amdhsa_uses_dynamic_stack 0
		.amdhsa_enable_private_segment 0
		.amdhsa_system_sgpr_workgroup_id_x 1
		.amdhsa_system_sgpr_workgroup_id_y 0
		.amdhsa_system_sgpr_workgroup_id_z 0
		.amdhsa_system_sgpr_workgroup_info 0
		.amdhsa_system_vgpr_workitem_id 0
		.amdhsa_next_free_vgpr 169
		.amdhsa_next_free_sgpr 96
		.amdhsa_accum_offset 164
		.amdhsa_reserve_vcc 1
		.amdhsa_float_round_mode_32 0
		.amdhsa_float_round_mode_16_64 0
		.amdhsa_float_denorm_mode_32 3
		.amdhsa_float_denorm_mode_16_64 3
		.amdhsa_dx10_clamp 1
		.amdhsa_ieee_mode 1
		.amdhsa_fp16_overflow 0
		.amdhsa_tg_split 0
		.amdhsa_exception_fp_ieee_invalid_op 0
		.amdhsa_exception_fp_denorm_src 0
		.amdhsa_exception_fp_ieee_div_zero 0
		.amdhsa_exception_fp_ieee_overflow 0
		.amdhsa_exception_fp_ieee_underflow 0
		.amdhsa_exception_fp_ieee_inexact 0
		.amdhsa_exception_int_div_zero 0
	.end_amdhsa_kernel
	.section	.text._ZN2ck51kernel_gemm_multiple_d_xdl_cshuffle_lds_direct_loadINS_48GridwiseGemmMultipleD_Xdl_CShuffle_LdsDirectLoadINS_13tensor_layout4gemm8RowMajorENS3_11ColumnMajorENS_5TupleIJS4_S4_EEES4_fffffNS6_IJffEEEfNS_16tensor_operation12element_wise11PassThroughESB_NSA_14AddAddFastGeluELNS_25InMemoryDataOperationEnumE0ELNS9_6device18GemmSpecializationE0ELi1ELi64ELi64ELi64ELi64ELi8ELi8ELi32ELi32ELi2ELi2ENS_8SequenceIJLi8ELi1ELi8EEEENSG_IJLi1ELi0ELi2EEEELi2ELi1ELi0ESH_SI_Li2ELi1ELi0ELi1ELi1ENSG_IJLi1ELi8ELi1ELi8EEEELi4ELNS_13LoopSchedulerE0ELNS_15PipelineVersionE2EfEEffNS6_IJPKfSO_EEEfSB_SB_SC_NS_16TensorDescriptorINS6_IJNS_5EmbedINS6_IJiiEEENS6_IJiNS_17integral_constantIiLi1EEEEEELb0EEENS_11PassThroughIiEESY_NS_7UnMergeINS6_IJiNST_IiLi8EEEEEELb0EEESY_EEENS6_IJNSG_IJLi0EEEENSG_IJLi1EEEENSG_IJLi2EEEENSG_IJLi4EEEENSG_IJLi3EEEEEEENS6_IJNSG_IJLi1ELi2EEEES18_S17_NSG_IJLi5ELi6EEEENSG_IJLi7EEEEEEENSG_IJLi5ELi7ELi6EEEElEES1F_NS6_IJNSQ_INS6_IJSW_SY_SY_NSZ_INS6_IJiNST_IiLi64EEEEEELb0EEES1I_EEENS6_IJS14_S15_S16_S18_S17_EEENS6_IJS1A_S18_S17_S1B_NSG_IJLi7ELi8EEEEEEENSG_IJLi5ELi6ELi7ELi8EEEElEES1O_EEES1O_NS_31BlockToCTileMap_M00_N0_M01AdaptILi64ELi64ENSQ_INS6_IJSW_SY_SY_EEENS6_IJS14_S15_S16_EEENS6_IJS1A_S18_S17_EEENSG_IJLi3ELi4EEEElEEiEELb0ELi2EEEvPKT0_PKT1_T2_PT3_T4_T5_T6_T7_T8_T9_T10_T11_,"axG",@progbits,_ZN2ck51kernel_gemm_multiple_d_xdl_cshuffle_lds_direct_loadINS_48GridwiseGemmMultipleD_Xdl_CShuffle_LdsDirectLoadINS_13tensor_layout4gemm8RowMajorENS3_11ColumnMajorENS_5TupleIJS4_S4_EEES4_fffffNS6_IJffEEEfNS_16tensor_operation12element_wise11PassThroughESB_NSA_14AddAddFastGeluELNS_25InMemoryDataOperationEnumE0ELNS9_6device18GemmSpecializationE0ELi1ELi64ELi64ELi64ELi64ELi8ELi8ELi32ELi32ELi2ELi2ENS_8SequenceIJLi8ELi1ELi8EEEENSG_IJLi1ELi0ELi2EEEELi2ELi1ELi0ESH_SI_Li2ELi1ELi0ELi1ELi1ENSG_IJLi1ELi8ELi1ELi8EEEELi4ELNS_13LoopSchedulerE0ELNS_15PipelineVersionE2EfEEffNS6_IJPKfSO_EEEfSB_SB_SC_NS_16TensorDescriptorINS6_IJNS_5EmbedINS6_IJiiEEENS6_IJiNS_17integral_constantIiLi1EEEEEELb0EEENS_11PassThroughIiEESY_NS_7UnMergeINS6_IJiNST_IiLi8EEEEEELb0EEESY_EEENS6_IJNSG_IJLi0EEEENSG_IJLi1EEEENSG_IJLi2EEEENSG_IJLi4EEEENSG_IJLi3EEEEEEENS6_IJNSG_IJLi1ELi2EEEES18_S17_NSG_IJLi5ELi6EEEENSG_IJLi7EEEEEEENSG_IJLi5ELi7ELi6EEEElEES1F_NS6_IJNSQ_INS6_IJSW_SY_SY_NSZ_INS6_IJiNST_IiLi64EEEEEELb0EEES1I_EEENS6_IJS14_S15_S16_S18_S17_EEENS6_IJS1A_S18_S17_S1B_NSG_IJLi7ELi8EEEEEEENSG_IJLi5ELi6ELi7ELi8EEEElEES1O_EEES1O_NS_31BlockToCTileMap_M00_N0_M01AdaptILi64ELi64ENSQ_INS6_IJSW_SY_SY_EEENS6_IJS14_S15_S16_EEENS6_IJS1A_S18_S17_EEENSG_IJLi3ELi4EEEElEEiEELb0ELi2EEEvPKT0_PKT1_T2_PT3_T4_T5_T6_T7_T8_T9_T10_T11_,comdat
.Lfunc_end2:
	.size	_ZN2ck51kernel_gemm_multiple_d_xdl_cshuffle_lds_direct_loadINS_48GridwiseGemmMultipleD_Xdl_CShuffle_LdsDirectLoadINS_13tensor_layout4gemm8RowMajorENS3_11ColumnMajorENS_5TupleIJS4_S4_EEES4_fffffNS6_IJffEEEfNS_16tensor_operation12element_wise11PassThroughESB_NSA_14AddAddFastGeluELNS_25InMemoryDataOperationEnumE0ELNS9_6device18GemmSpecializationE0ELi1ELi64ELi64ELi64ELi64ELi8ELi8ELi32ELi32ELi2ELi2ENS_8SequenceIJLi8ELi1ELi8EEEENSG_IJLi1ELi0ELi2EEEELi2ELi1ELi0ESH_SI_Li2ELi1ELi0ELi1ELi1ENSG_IJLi1ELi8ELi1ELi8EEEELi4ELNS_13LoopSchedulerE0ELNS_15PipelineVersionE2EfEEffNS6_IJPKfSO_EEEfSB_SB_SC_NS_16TensorDescriptorINS6_IJNS_5EmbedINS6_IJiiEEENS6_IJiNS_17integral_constantIiLi1EEEEEELb0EEENS_11PassThroughIiEESY_NS_7UnMergeINS6_IJiNST_IiLi8EEEEEELb0EEESY_EEENS6_IJNSG_IJLi0EEEENSG_IJLi1EEEENSG_IJLi2EEEENSG_IJLi4EEEENSG_IJLi3EEEEEEENS6_IJNSG_IJLi1ELi2EEEES18_S17_NSG_IJLi5ELi6EEEENSG_IJLi7EEEEEEENSG_IJLi5ELi7ELi6EEEElEES1F_NS6_IJNSQ_INS6_IJSW_SY_SY_NSZ_INS6_IJiNST_IiLi64EEEEEELb0EEES1I_EEENS6_IJS14_S15_S16_S18_S17_EEENS6_IJS1A_S18_S17_S1B_NSG_IJLi7ELi8EEEEEEENSG_IJLi5ELi6ELi7ELi8EEEElEES1O_EEES1O_NS_31BlockToCTileMap_M00_N0_M01AdaptILi64ELi64ENSQ_INS6_IJSW_SY_SY_EEENS6_IJS14_S15_S16_EEENS6_IJS1A_S18_S17_EEENSG_IJLi3ELi4EEEElEEiEELb0ELi2EEEvPKT0_PKT1_T2_PT3_T4_T5_T6_T7_T8_T9_T10_T11_, .Lfunc_end2-_ZN2ck51kernel_gemm_multiple_d_xdl_cshuffle_lds_direct_loadINS_48GridwiseGemmMultipleD_Xdl_CShuffle_LdsDirectLoadINS_13tensor_layout4gemm8RowMajorENS3_11ColumnMajorENS_5TupleIJS4_S4_EEES4_fffffNS6_IJffEEEfNS_16tensor_operation12element_wise11PassThroughESB_NSA_14AddAddFastGeluELNS_25InMemoryDataOperationEnumE0ELNS9_6device18GemmSpecializationE0ELi1ELi64ELi64ELi64ELi64ELi8ELi8ELi32ELi32ELi2ELi2ENS_8SequenceIJLi8ELi1ELi8EEEENSG_IJLi1ELi0ELi2EEEELi2ELi1ELi0ESH_SI_Li2ELi1ELi0ELi1ELi1ENSG_IJLi1ELi8ELi1ELi8EEEELi4ELNS_13LoopSchedulerE0ELNS_15PipelineVersionE2EfEEffNS6_IJPKfSO_EEEfSB_SB_SC_NS_16TensorDescriptorINS6_IJNS_5EmbedINS6_IJiiEEENS6_IJiNS_17integral_constantIiLi1EEEEEELb0EEENS_11PassThroughIiEESY_NS_7UnMergeINS6_IJiNST_IiLi8EEEEEELb0EEESY_EEENS6_IJNSG_IJLi0EEEENSG_IJLi1EEEENSG_IJLi2EEEENSG_IJLi4EEEENSG_IJLi3EEEEEEENS6_IJNSG_IJLi1ELi2EEEES18_S17_NSG_IJLi5ELi6EEEENSG_IJLi7EEEEEEENSG_IJLi5ELi7ELi6EEEElEES1F_NS6_IJNSQ_INS6_IJSW_SY_SY_NSZ_INS6_IJiNST_IiLi64EEEEEELb0EEES1I_EEENS6_IJS14_S15_S16_S18_S17_EEENS6_IJS1A_S18_S17_S1B_NSG_IJLi7ELi8EEEEEEENSG_IJLi5ELi6ELi7ELi8EEEElEES1O_EEES1O_NS_31BlockToCTileMap_M00_N0_M01AdaptILi64ELi64ENSQ_INS6_IJSW_SY_SY_EEENS6_IJS14_S15_S16_EEENS6_IJS1A_S18_S17_EEENSG_IJLi3ELi4EEEElEEiEELb0ELi2EEEvPKT0_PKT1_T2_PT3_T4_T5_T6_T7_T8_T9_T10_T11_
                                        ; -- End function
	.set _ZN2ck51kernel_gemm_multiple_d_xdl_cshuffle_lds_direct_loadINS_48GridwiseGemmMultipleD_Xdl_CShuffle_LdsDirectLoadINS_13tensor_layout4gemm8RowMajorENS3_11ColumnMajorENS_5TupleIJS4_S4_EEES4_fffffNS6_IJffEEEfNS_16tensor_operation12element_wise11PassThroughESB_NSA_14AddAddFastGeluELNS_25InMemoryDataOperationEnumE0ELNS9_6device18GemmSpecializationE0ELi1ELi64ELi64ELi64ELi64ELi8ELi8ELi32ELi32ELi2ELi2ENS_8SequenceIJLi8ELi1ELi8EEEENSG_IJLi1ELi0ELi2EEEELi2ELi1ELi0ESH_SI_Li2ELi1ELi0ELi1ELi1ENSG_IJLi1ELi8ELi1ELi8EEEELi4ELNS_13LoopSchedulerE0ELNS_15PipelineVersionE2EfEEffNS6_IJPKfSO_EEEfSB_SB_SC_NS_16TensorDescriptorINS6_IJNS_5EmbedINS6_IJiiEEENS6_IJiNS_17integral_constantIiLi1EEEEEELb0EEENS_11PassThroughIiEESY_NS_7UnMergeINS6_IJiNST_IiLi8EEEEEELb0EEESY_EEENS6_IJNSG_IJLi0EEEENSG_IJLi1EEEENSG_IJLi2EEEENSG_IJLi4EEEENSG_IJLi3EEEEEEENS6_IJNSG_IJLi1ELi2EEEES18_S17_NSG_IJLi5ELi6EEEENSG_IJLi7EEEEEEENSG_IJLi5ELi7ELi6EEEElEES1F_NS6_IJNSQ_INS6_IJSW_SY_SY_NSZ_INS6_IJiNST_IiLi64EEEEEELb0EEES1I_EEENS6_IJS14_S15_S16_S18_S17_EEENS6_IJS1A_S18_S17_S1B_NSG_IJLi7ELi8EEEEEEENSG_IJLi5ELi6ELi7ELi8EEEElEES1O_EEES1O_NS_31BlockToCTileMap_M00_N0_M01AdaptILi64ELi64ENSQ_INS6_IJSW_SY_SY_EEENS6_IJS14_S15_S16_EEENS6_IJS1A_S18_S17_EEENSG_IJLi3ELi4EEEElEEiEELb0ELi2EEEvPKT0_PKT1_T2_PT3_T4_T5_T6_T7_T8_T9_T10_T11_.num_vgpr, 163
	.set _ZN2ck51kernel_gemm_multiple_d_xdl_cshuffle_lds_direct_loadINS_48GridwiseGemmMultipleD_Xdl_CShuffle_LdsDirectLoadINS_13tensor_layout4gemm8RowMajorENS3_11ColumnMajorENS_5TupleIJS4_S4_EEES4_fffffNS6_IJffEEEfNS_16tensor_operation12element_wise11PassThroughESB_NSA_14AddAddFastGeluELNS_25InMemoryDataOperationEnumE0ELNS9_6device18GemmSpecializationE0ELi1ELi64ELi64ELi64ELi64ELi8ELi8ELi32ELi32ELi2ELi2ENS_8SequenceIJLi8ELi1ELi8EEEENSG_IJLi1ELi0ELi2EEEELi2ELi1ELi0ESH_SI_Li2ELi1ELi0ELi1ELi1ENSG_IJLi1ELi8ELi1ELi8EEEELi4ELNS_13LoopSchedulerE0ELNS_15PipelineVersionE2EfEEffNS6_IJPKfSO_EEEfSB_SB_SC_NS_16TensorDescriptorINS6_IJNS_5EmbedINS6_IJiiEEENS6_IJiNS_17integral_constantIiLi1EEEEEELb0EEENS_11PassThroughIiEESY_NS_7UnMergeINS6_IJiNST_IiLi8EEEEEELb0EEESY_EEENS6_IJNSG_IJLi0EEEENSG_IJLi1EEEENSG_IJLi2EEEENSG_IJLi4EEEENSG_IJLi3EEEEEEENS6_IJNSG_IJLi1ELi2EEEES18_S17_NSG_IJLi5ELi6EEEENSG_IJLi7EEEEEEENSG_IJLi5ELi7ELi6EEEElEES1F_NS6_IJNSQ_INS6_IJSW_SY_SY_NSZ_INS6_IJiNST_IiLi64EEEEEELb0EEES1I_EEENS6_IJS14_S15_S16_S18_S17_EEENS6_IJS1A_S18_S17_S1B_NSG_IJLi7ELi8EEEEEEENSG_IJLi5ELi6ELi7ELi8EEEElEES1O_EEES1O_NS_31BlockToCTileMap_M00_N0_M01AdaptILi64ELi64ENSQ_INS6_IJSW_SY_SY_EEENS6_IJS14_S15_S16_EEENS6_IJS1A_S18_S17_EEENSG_IJLi3ELi4EEEElEEiEELb0ELi2EEEvPKT0_PKT1_T2_PT3_T4_T5_T6_T7_T8_T9_T10_T11_.num_agpr, 0
	.set _ZN2ck51kernel_gemm_multiple_d_xdl_cshuffle_lds_direct_loadINS_48GridwiseGemmMultipleD_Xdl_CShuffle_LdsDirectLoadINS_13tensor_layout4gemm8RowMajorENS3_11ColumnMajorENS_5TupleIJS4_S4_EEES4_fffffNS6_IJffEEEfNS_16tensor_operation12element_wise11PassThroughESB_NSA_14AddAddFastGeluELNS_25InMemoryDataOperationEnumE0ELNS9_6device18GemmSpecializationE0ELi1ELi64ELi64ELi64ELi64ELi8ELi8ELi32ELi32ELi2ELi2ENS_8SequenceIJLi8ELi1ELi8EEEENSG_IJLi1ELi0ELi2EEEELi2ELi1ELi0ESH_SI_Li2ELi1ELi0ELi1ELi1ENSG_IJLi1ELi8ELi1ELi8EEEELi4ELNS_13LoopSchedulerE0ELNS_15PipelineVersionE2EfEEffNS6_IJPKfSO_EEEfSB_SB_SC_NS_16TensorDescriptorINS6_IJNS_5EmbedINS6_IJiiEEENS6_IJiNS_17integral_constantIiLi1EEEEEELb0EEENS_11PassThroughIiEESY_NS_7UnMergeINS6_IJiNST_IiLi8EEEEEELb0EEESY_EEENS6_IJNSG_IJLi0EEEENSG_IJLi1EEEENSG_IJLi2EEEENSG_IJLi4EEEENSG_IJLi3EEEEEEENS6_IJNSG_IJLi1ELi2EEEES18_S17_NSG_IJLi5ELi6EEEENSG_IJLi7EEEEEEENSG_IJLi5ELi7ELi6EEEElEES1F_NS6_IJNSQ_INS6_IJSW_SY_SY_NSZ_INS6_IJiNST_IiLi64EEEEEELb0EEES1I_EEENS6_IJS14_S15_S16_S18_S17_EEENS6_IJS1A_S18_S17_S1B_NSG_IJLi7ELi8EEEEEEENSG_IJLi5ELi6ELi7ELi8EEEElEES1O_EEES1O_NS_31BlockToCTileMap_M00_N0_M01AdaptILi64ELi64ENSQ_INS6_IJSW_SY_SY_EEENS6_IJS14_S15_S16_EEENS6_IJS1A_S18_S17_EEENSG_IJLi3ELi4EEEElEEiEELb0ELi2EEEvPKT0_PKT1_T2_PT3_T4_T5_T6_T7_T8_T9_T10_T11_.numbered_sgpr, 27
	.set _ZN2ck51kernel_gemm_multiple_d_xdl_cshuffle_lds_direct_loadINS_48GridwiseGemmMultipleD_Xdl_CShuffle_LdsDirectLoadINS_13tensor_layout4gemm8RowMajorENS3_11ColumnMajorENS_5TupleIJS4_S4_EEES4_fffffNS6_IJffEEEfNS_16tensor_operation12element_wise11PassThroughESB_NSA_14AddAddFastGeluELNS_25InMemoryDataOperationEnumE0ELNS9_6device18GemmSpecializationE0ELi1ELi64ELi64ELi64ELi64ELi8ELi8ELi32ELi32ELi2ELi2ENS_8SequenceIJLi8ELi1ELi8EEEENSG_IJLi1ELi0ELi2EEEELi2ELi1ELi0ESH_SI_Li2ELi1ELi0ELi1ELi1ENSG_IJLi1ELi8ELi1ELi8EEEELi4ELNS_13LoopSchedulerE0ELNS_15PipelineVersionE2EfEEffNS6_IJPKfSO_EEEfSB_SB_SC_NS_16TensorDescriptorINS6_IJNS_5EmbedINS6_IJiiEEENS6_IJiNS_17integral_constantIiLi1EEEEEELb0EEENS_11PassThroughIiEESY_NS_7UnMergeINS6_IJiNST_IiLi8EEEEEELb0EEESY_EEENS6_IJNSG_IJLi0EEEENSG_IJLi1EEEENSG_IJLi2EEEENSG_IJLi4EEEENSG_IJLi3EEEEEEENS6_IJNSG_IJLi1ELi2EEEES18_S17_NSG_IJLi5ELi6EEEENSG_IJLi7EEEEEEENSG_IJLi5ELi7ELi6EEEElEES1F_NS6_IJNSQ_INS6_IJSW_SY_SY_NSZ_INS6_IJiNST_IiLi64EEEEEELb0EEES1I_EEENS6_IJS14_S15_S16_S18_S17_EEENS6_IJS1A_S18_S17_S1B_NSG_IJLi7ELi8EEEEEEENSG_IJLi5ELi6ELi7ELi8EEEElEES1O_EEES1O_NS_31BlockToCTileMap_M00_N0_M01AdaptILi64ELi64ENSQ_INS6_IJSW_SY_SY_EEENS6_IJS14_S15_S16_EEENS6_IJS1A_S18_S17_EEENSG_IJLi3ELi4EEEElEEiEELb0ELi2EEEvPKT0_PKT1_T2_PT3_T4_T5_T6_T7_T8_T9_T10_T11_.num_named_barrier, 0
	.set _ZN2ck51kernel_gemm_multiple_d_xdl_cshuffle_lds_direct_loadINS_48GridwiseGemmMultipleD_Xdl_CShuffle_LdsDirectLoadINS_13tensor_layout4gemm8RowMajorENS3_11ColumnMajorENS_5TupleIJS4_S4_EEES4_fffffNS6_IJffEEEfNS_16tensor_operation12element_wise11PassThroughESB_NSA_14AddAddFastGeluELNS_25InMemoryDataOperationEnumE0ELNS9_6device18GemmSpecializationE0ELi1ELi64ELi64ELi64ELi64ELi8ELi8ELi32ELi32ELi2ELi2ENS_8SequenceIJLi8ELi1ELi8EEEENSG_IJLi1ELi0ELi2EEEELi2ELi1ELi0ESH_SI_Li2ELi1ELi0ELi1ELi1ENSG_IJLi1ELi8ELi1ELi8EEEELi4ELNS_13LoopSchedulerE0ELNS_15PipelineVersionE2EfEEffNS6_IJPKfSO_EEEfSB_SB_SC_NS_16TensorDescriptorINS6_IJNS_5EmbedINS6_IJiiEEENS6_IJiNS_17integral_constantIiLi1EEEEEELb0EEENS_11PassThroughIiEESY_NS_7UnMergeINS6_IJiNST_IiLi8EEEEEELb0EEESY_EEENS6_IJNSG_IJLi0EEEENSG_IJLi1EEEENSG_IJLi2EEEENSG_IJLi4EEEENSG_IJLi3EEEEEEENS6_IJNSG_IJLi1ELi2EEEES18_S17_NSG_IJLi5ELi6EEEENSG_IJLi7EEEEEEENSG_IJLi5ELi7ELi6EEEElEES1F_NS6_IJNSQ_INS6_IJSW_SY_SY_NSZ_INS6_IJiNST_IiLi64EEEEEELb0EEES1I_EEENS6_IJS14_S15_S16_S18_S17_EEENS6_IJS1A_S18_S17_S1B_NSG_IJLi7ELi8EEEEEEENSG_IJLi5ELi6ELi7ELi8EEEElEES1O_EEES1O_NS_31BlockToCTileMap_M00_N0_M01AdaptILi64ELi64ENSQ_INS6_IJSW_SY_SY_EEENS6_IJS14_S15_S16_EEENS6_IJS1A_S18_S17_EEENSG_IJLi3ELi4EEEElEEiEELb0ELi2EEEvPKT0_PKT1_T2_PT3_T4_T5_T6_T7_T8_T9_T10_T11_.private_seg_size, 0
	.set _ZN2ck51kernel_gemm_multiple_d_xdl_cshuffle_lds_direct_loadINS_48GridwiseGemmMultipleD_Xdl_CShuffle_LdsDirectLoadINS_13tensor_layout4gemm8RowMajorENS3_11ColumnMajorENS_5TupleIJS4_S4_EEES4_fffffNS6_IJffEEEfNS_16tensor_operation12element_wise11PassThroughESB_NSA_14AddAddFastGeluELNS_25InMemoryDataOperationEnumE0ELNS9_6device18GemmSpecializationE0ELi1ELi64ELi64ELi64ELi64ELi8ELi8ELi32ELi32ELi2ELi2ENS_8SequenceIJLi8ELi1ELi8EEEENSG_IJLi1ELi0ELi2EEEELi2ELi1ELi0ESH_SI_Li2ELi1ELi0ELi1ELi1ENSG_IJLi1ELi8ELi1ELi8EEEELi4ELNS_13LoopSchedulerE0ELNS_15PipelineVersionE2EfEEffNS6_IJPKfSO_EEEfSB_SB_SC_NS_16TensorDescriptorINS6_IJNS_5EmbedINS6_IJiiEEENS6_IJiNS_17integral_constantIiLi1EEEEEELb0EEENS_11PassThroughIiEESY_NS_7UnMergeINS6_IJiNST_IiLi8EEEEEELb0EEESY_EEENS6_IJNSG_IJLi0EEEENSG_IJLi1EEEENSG_IJLi2EEEENSG_IJLi4EEEENSG_IJLi3EEEEEEENS6_IJNSG_IJLi1ELi2EEEES18_S17_NSG_IJLi5ELi6EEEENSG_IJLi7EEEEEEENSG_IJLi5ELi7ELi6EEEElEES1F_NS6_IJNSQ_INS6_IJSW_SY_SY_NSZ_INS6_IJiNST_IiLi64EEEEEELb0EEES1I_EEENS6_IJS14_S15_S16_S18_S17_EEENS6_IJS1A_S18_S17_S1B_NSG_IJLi7ELi8EEEEEEENSG_IJLi5ELi6ELi7ELi8EEEElEES1O_EEES1O_NS_31BlockToCTileMap_M00_N0_M01AdaptILi64ELi64ENSQ_INS6_IJSW_SY_SY_EEENS6_IJS14_S15_S16_EEENS6_IJS1A_S18_S17_EEENSG_IJLi3ELi4EEEElEEiEELb0ELi2EEEvPKT0_PKT1_T2_PT3_T4_T5_T6_T7_T8_T9_T10_T11_.uses_vcc, 1
	.set _ZN2ck51kernel_gemm_multiple_d_xdl_cshuffle_lds_direct_loadINS_48GridwiseGemmMultipleD_Xdl_CShuffle_LdsDirectLoadINS_13tensor_layout4gemm8RowMajorENS3_11ColumnMajorENS_5TupleIJS4_S4_EEES4_fffffNS6_IJffEEEfNS_16tensor_operation12element_wise11PassThroughESB_NSA_14AddAddFastGeluELNS_25InMemoryDataOperationEnumE0ELNS9_6device18GemmSpecializationE0ELi1ELi64ELi64ELi64ELi64ELi8ELi8ELi32ELi32ELi2ELi2ENS_8SequenceIJLi8ELi1ELi8EEEENSG_IJLi1ELi0ELi2EEEELi2ELi1ELi0ESH_SI_Li2ELi1ELi0ELi1ELi1ENSG_IJLi1ELi8ELi1ELi8EEEELi4ELNS_13LoopSchedulerE0ELNS_15PipelineVersionE2EfEEffNS6_IJPKfSO_EEEfSB_SB_SC_NS_16TensorDescriptorINS6_IJNS_5EmbedINS6_IJiiEEENS6_IJiNS_17integral_constantIiLi1EEEEEELb0EEENS_11PassThroughIiEESY_NS_7UnMergeINS6_IJiNST_IiLi8EEEEEELb0EEESY_EEENS6_IJNSG_IJLi0EEEENSG_IJLi1EEEENSG_IJLi2EEEENSG_IJLi4EEEENSG_IJLi3EEEEEEENS6_IJNSG_IJLi1ELi2EEEES18_S17_NSG_IJLi5ELi6EEEENSG_IJLi7EEEEEEENSG_IJLi5ELi7ELi6EEEElEES1F_NS6_IJNSQ_INS6_IJSW_SY_SY_NSZ_INS6_IJiNST_IiLi64EEEEEELb0EEES1I_EEENS6_IJS14_S15_S16_S18_S17_EEENS6_IJS1A_S18_S17_S1B_NSG_IJLi7ELi8EEEEEEENSG_IJLi5ELi6ELi7ELi8EEEElEES1O_EEES1O_NS_31BlockToCTileMap_M00_N0_M01AdaptILi64ELi64ENSQ_INS6_IJSW_SY_SY_EEENS6_IJS14_S15_S16_EEENS6_IJS1A_S18_S17_EEENSG_IJLi3ELi4EEEElEEiEELb0ELi2EEEvPKT0_PKT1_T2_PT3_T4_T5_T6_T7_T8_T9_T10_T11_.uses_flat_scratch, 0
	.set _ZN2ck51kernel_gemm_multiple_d_xdl_cshuffle_lds_direct_loadINS_48GridwiseGemmMultipleD_Xdl_CShuffle_LdsDirectLoadINS_13tensor_layout4gemm8RowMajorENS3_11ColumnMajorENS_5TupleIJS4_S4_EEES4_fffffNS6_IJffEEEfNS_16tensor_operation12element_wise11PassThroughESB_NSA_14AddAddFastGeluELNS_25InMemoryDataOperationEnumE0ELNS9_6device18GemmSpecializationE0ELi1ELi64ELi64ELi64ELi64ELi8ELi8ELi32ELi32ELi2ELi2ENS_8SequenceIJLi8ELi1ELi8EEEENSG_IJLi1ELi0ELi2EEEELi2ELi1ELi0ESH_SI_Li2ELi1ELi0ELi1ELi1ENSG_IJLi1ELi8ELi1ELi8EEEELi4ELNS_13LoopSchedulerE0ELNS_15PipelineVersionE2EfEEffNS6_IJPKfSO_EEEfSB_SB_SC_NS_16TensorDescriptorINS6_IJNS_5EmbedINS6_IJiiEEENS6_IJiNS_17integral_constantIiLi1EEEEEELb0EEENS_11PassThroughIiEESY_NS_7UnMergeINS6_IJiNST_IiLi8EEEEEELb0EEESY_EEENS6_IJNSG_IJLi0EEEENSG_IJLi1EEEENSG_IJLi2EEEENSG_IJLi4EEEENSG_IJLi3EEEEEEENS6_IJNSG_IJLi1ELi2EEEES18_S17_NSG_IJLi5ELi6EEEENSG_IJLi7EEEEEEENSG_IJLi5ELi7ELi6EEEElEES1F_NS6_IJNSQ_INS6_IJSW_SY_SY_NSZ_INS6_IJiNST_IiLi64EEEEEELb0EEES1I_EEENS6_IJS14_S15_S16_S18_S17_EEENS6_IJS1A_S18_S17_S1B_NSG_IJLi7ELi8EEEEEEENSG_IJLi5ELi6ELi7ELi8EEEElEES1O_EEES1O_NS_31BlockToCTileMap_M00_N0_M01AdaptILi64ELi64ENSQ_INS6_IJSW_SY_SY_EEENS6_IJS14_S15_S16_EEENS6_IJS1A_S18_S17_EEENSG_IJLi3ELi4EEEElEEiEELb0ELi2EEEvPKT0_PKT1_T2_PT3_T4_T5_T6_T7_T8_T9_T10_T11_.has_dyn_sized_stack, 0
	.set _ZN2ck51kernel_gemm_multiple_d_xdl_cshuffle_lds_direct_loadINS_48GridwiseGemmMultipleD_Xdl_CShuffle_LdsDirectLoadINS_13tensor_layout4gemm8RowMajorENS3_11ColumnMajorENS_5TupleIJS4_S4_EEES4_fffffNS6_IJffEEEfNS_16tensor_operation12element_wise11PassThroughESB_NSA_14AddAddFastGeluELNS_25InMemoryDataOperationEnumE0ELNS9_6device18GemmSpecializationE0ELi1ELi64ELi64ELi64ELi64ELi8ELi8ELi32ELi32ELi2ELi2ENS_8SequenceIJLi8ELi1ELi8EEEENSG_IJLi1ELi0ELi2EEEELi2ELi1ELi0ESH_SI_Li2ELi1ELi0ELi1ELi1ENSG_IJLi1ELi8ELi1ELi8EEEELi4ELNS_13LoopSchedulerE0ELNS_15PipelineVersionE2EfEEffNS6_IJPKfSO_EEEfSB_SB_SC_NS_16TensorDescriptorINS6_IJNS_5EmbedINS6_IJiiEEENS6_IJiNS_17integral_constantIiLi1EEEEEELb0EEENS_11PassThroughIiEESY_NS_7UnMergeINS6_IJiNST_IiLi8EEEEEELb0EEESY_EEENS6_IJNSG_IJLi0EEEENSG_IJLi1EEEENSG_IJLi2EEEENSG_IJLi4EEEENSG_IJLi3EEEEEEENS6_IJNSG_IJLi1ELi2EEEES18_S17_NSG_IJLi5ELi6EEEENSG_IJLi7EEEEEEENSG_IJLi5ELi7ELi6EEEElEES1F_NS6_IJNSQ_INS6_IJSW_SY_SY_NSZ_INS6_IJiNST_IiLi64EEEEEELb0EEES1I_EEENS6_IJS14_S15_S16_S18_S17_EEENS6_IJS1A_S18_S17_S1B_NSG_IJLi7ELi8EEEEEEENSG_IJLi5ELi6ELi7ELi8EEEElEES1O_EEES1O_NS_31BlockToCTileMap_M00_N0_M01AdaptILi64ELi64ENSQ_INS6_IJSW_SY_SY_EEENS6_IJS14_S15_S16_EEENS6_IJS1A_S18_S17_EEENSG_IJLi3ELi4EEEElEEiEELb0ELi2EEEvPKT0_PKT1_T2_PT3_T4_T5_T6_T7_T8_T9_T10_T11_.has_recursion, 0
	.set _ZN2ck51kernel_gemm_multiple_d_xdl_cshuffle_lds_direct_loadINS_48GridwiseGemmMultipleD_Xdl_CShuffle_LdsDirectLoadINS_13tensor_layout4gemm8RowMajorENS3_11ColumnMajorENS_5TupleIJS4_S4_EEES4_fffffNS6_IJffEEEfNS_16tensor_operation12element_wise11PassThroughESB_NSA_14AddAddFastGeluELNS_25InMemoryDataOperationEnumE0ELNS9_6device18GemmSpecializationE0ELi1ELi64ELi64ELi64ELi64ELi8ELi8ELi32ELi32ELi2ELi2ENS_8SequenceIJLi8ELi1ELi8EEEENSG_IJLi1ELi0ELi2EEEELi2ELi1ELi0ESH_SI_Li2ELi1ELi0ELi1ELi1ENSG_IJLi1ELi8ELi1ELi8EEEELi4ELNS_13LoopSchedulerE0ELNS_15PipelineVersionE2EfEEffNS6_IJPKfSO_EEEfSB_SB_SC_NS_16TensorDescriptorINS6_IJNS_5EmbedINS6_IJiiEEENS6_IJiNS_17integral_constantIiLi1EEEEEELb0EEENS_11PassThroughIiEESY_NS_7UnMergeINS6_IJiNST_IiLi8EEEEEELb0EEESY_EEENS6_IJNSG_IJLi0EEEENSG_IJLi1EEEENSG_IJLi2EEEENSG_IJLi4EEEENSG_IJLi3EEEEEEENS6_IJNSG_IJLi1ELi2EEEES18_S17_NSG_IJLi5ELi6EEEENSG_IJLi7EEEEEEENSG_IJLi5ELi7ELi6EEEElEES1F_NS6_IJNSQ_INS6_IJSW_SY_SY_NSZ_INS6_IJiNST_IiLi64EEEEEELb0EEES1I_EEENS6_IJS14_S15_S16_S18_S17_EEENS6_IJS1A_S18_S17_S1B_NSG_IJLi7ELi8EEEEEEENSG_IJLi5ELi6ELi7ELi8EEEElEES1O_EEES1O_NS_31BlockToCTileMap_M00_N0_M01AdaptILi64ELi64ENSQ_INS6_IJSW_SY_SY_EEENS6_IJS14_S15_S16_EEENS6_IJS1A_S18_S17_EEENSG_IJLi3ELi4EEEElEEiEELb0ELi2EEEvPKT0_PKT1_T2_PT3_T4_T5_T6_T7_T8_T9_T10_T11_.has_indirect_call, 0
	.section	.AMDGPU.csdata,"",@progbits
; Kernel info:
; codeLenInByte = 18688
; TotalNumSgprs: 33
; NumVgprs: 163
; NumAgprs: 0
; TotalNumVgprs: 163
; ScratchSize: 0
; MemoryBound: 0
; FloatMode: 240
; IeeeMode: 1
; LDSByteSize: 32768 bytes/workgroup (compile time only)
; SGPRBlocks: 12
; VGPRBlocks: 21
; NumSGPRsForWavesPerEU: 102
; NumVGPRsForWavesPerEU: 169
; AccumOffset: 164
; Occupancy: 2
; WaveLimiterHint : 0
; COMPUTE_PGM_RSRC2:SCRATCH_EN: 0
; COMPUTE_PGM_RSRC2:USER_SGPR: 2
; COMPUTE_PGM_RSRC2:TRAP_HANDLER: 0
; COMPUTE_PGM_RSRC2:TGID_X_EN: 1
; COMPUTE_PGM_RSRC2:TGID_Y_EN: 0
; COMPUTE_PGM_RSRC2:TGID_Z_EN: 0
; COMPUTE_PGM_RSRC2:TIDIG_COMP_CNT: 0
; COMPUTE_PGM_RSRC3_GFX90A:ACCUM_OFFSET: 40
; COMPUTE_PGM_RSRC3_GFX90A:TG_SPLIT: 0
	.section	.text._ZN2ck51kernel_gemm_multiple_d_xdl_cshuffle_lds_direct_loadINS_48GridwiseGemmMultipleD_Xdl_CShuffle_LdsDirectLoadINS_13tensor_layout4gemm8RowMajorENS3_11ColumnMajorENS_5TupleIJS4_S4_EEES4_fffffNS6_IJffEEEfNS_16tensor_operation12element_wise11PassThroughESB_NSA_14AddAddFastGeluELNS_25InMemoryDataOperationEnumE0ELNS9_6device18GemmSpecializationE0ELi1ELi64ELi64ELi64ELi64ELi8ELi8ELi16ELi16ELi4ELi2ENS_8SequenceIJLi8ELi1ELi8EEEENSG_IJLi1ELi0ELi2EEEELi2ELi1ELi0ESH_SI_Li2ELi1ELi0ELi2ELi2ENSG_IJLi1ELi8ELi1ELi8EEEELi4ELNS_13LoopSchedulerE0ELNS_15PipelineVersionE2EfEEffNS6_IJPKfSO_EEEfSB_SB_SC_NS_16TensorDescriptorINS6_IJNS_5EmbedINS6_IJiiEEENS6_IJiNS_17integral_constantIiLi1EEEEEELb0EEENS_11PassThroughIiEESY_NS_7UnMergeINS6_IJiNST_IiLi8EEEEEELb0EEESY_EEENS6_IJNSG_IJLi0EEEENSG_IJLi1EEEENSG_IJLi2EEEENSG_IJLi4EEEENSG_IJLi3EEEEEEENS6_IJNSG_IJLi1ELi2EEEES18_S17_NSG_IJLi5ELi6EEEENSG_IJLi7EEEEEEENSG_IJLi5ELi7ELi6EEEElEES1F_NS6_IJNSQ_INS6_IJSW_SY_SY_NSZ_INS6_IJiNST_IiLi64EEEEEELb0EEES1I_EEENS6_IJS14_S15_S16_S18_S17_EEENS6_IJS1A_S18_S17_S1B_NSG_IJLi7ELi8EEEEEEENSG_IJLi5ELi6ELi7ELi8EEEElEES1O_EEES1O_NS_31BlockToCTileMap_M00_N0_M01AdaptILi64ELi64ENSQ_INS6_IJSW_SY_SY_EEENS6_IJS14_S15_S16_EEENS6_IJS1A_S18_S17_EEENSG_IJLi3ELi4EEEElEEiEELb1ELi2EEEvPKT0_PKT1_T2_PT3_T4_T5_T6_T7_T8_T9_T10_T11_,"axG",@progbits,_ZN2ck51kernel_gemm_multiple_d_xdl_cshuffle_lds_direct_loadINS_48GridwiseGemmMultipleD_Xdl_CShuffle_LdsDirectLoadINS_13tensor_layout4gemm8RowMajorENS3_11ColumnMajorENS_5TupleIJS4_S4_EEES4_fffffNS6_IJffEEEfNS_16tensor_operation12element_wise11PassThroughESB_NSA_14AddAddFastGeluELNS_25InMemoryDataOperationEnumE0ELNS9_6device18GemmSpecializationE0ELi1ELi64ELi64ELi64ELi64ELi8ELi8ELi16ELi16ELi4ELi2ENS_8SequenceIJLi8ELi1ELi8EEEENSG_IJLi1ELi0ELi2EEEELi2ELi1ELi0ESH_SI_Li2ELi1ELi0ELi2ELi2ENSG_IJLi1ELi8ELi1ELi8EEEELi4ELNS_13LoopSchedulerE0ELNS_15PipelineVersionE2EfEEffNS6_IJPKfSO_EEEfSB_SB_SC_NS_16TensorDescriptorINS6_IJNS_5EmbedINS6_IJiiEEENS6_IJiNS_17integral_constantIiLi1EEEEEELb0EEENS_11PassThroughIiEESY_NS_7UnMergeINS6_IJiNST_IiLi8EEEEEELb0EEESY_EEENS6_IJNSG_IJLi0EEEENSG_IJLi1EEEENSG_IJLi2EEEENSG_IJLi4EEEENSG_IJLi3EEEEEEENS6_IJNSG_IJLi1ELi2EEEES18_S17_NSG_IJLi5ELi6EEEENSG_IJLi7EEEEEEENSG_IJLi5ELi7ELi6EEEElEES1F_NS6_IJNSQ_INS6_IJSW_SY_SY_NSZ_INS6_IJiNST_IiLi64EEEEEELb0EEES1I_EEENS6_IJS14_S15_S16_S18_S17_EEENS6_IJS1A_S18_S17_S1B_NSG_IJLi7ELi8EEEEEEENSG_IJLi5ELi6ELi7ELi8EEEElEES1O_EEES1O_NS_31BlockToCTileMap_M00_N0_M01AdaptILi64ELi64ENSQ_INS6_IJSW_SY_SY_EEENS6_IJS14_S15_S16_EEENS6_IJS1A_S18_S17_EEENSG_IJLi3ELi4EEEElEEiEELb1ELi2EEEvPKT0_PKT1_T2_PT3_T4_T5_T6_T7_T8_T9_T10_T11_,comdat
	.protected	_ZN2ck51kernel_gemm_multiple_d_xdl_cshuffle_lds_direct_loadINS_48GridwiseGemmMultipleD_Xdl_CShuffle_LdsDirectLoadINS_13tensor_layout4gemm8RowMajorENS3_11ColumnMajorENS_5TupleIJS4_S4_EEES4_fffffNS6_IJffEEEfNS_16tensor_operation12element_wise11PassThroughESB_NSA_14AddAddFastGeluELNS_25InMemoryDataOperationEnumE0ELNS9_6device18GemmSpecializationE0ELi1ELi64ELi64ELi64ELi64ELi8ELi8ELi16ELi16ELi4ELi2ENS_8SequenceIJLi8ELi1ELi8EEEENSG_IJLi1ELi0ELi2EEEELi2ELi1ELi0ESH_SI_Li2ELi1ELi0ELi2ELi2ENSG_IJLi1ELi8ELi1ELi8EEEELi4ELNS_13LoopSchedulerE0ELNS_15PipelineVersionE2EfEEffNS6_IJPKfSO_EEEfSB_SB_SC_NS_16TensorDescriptorINS6_IJNS_5EmbedINS6_IJiiEEENS6_IJiNS_17integral_constantIiLi1EEEEEELb0EEENS_11PassThroughIiEESY_NS_7UnMergeINS6_IJiNST_IiLi8EEEEEELb0EEESY_EEENS6_IJNSG_IJLi0EEEENSG_IJLi1EEEENSG_IJLi2EEEENSG_IJLi4EEEENSG_IJLi3EEEEEEENS6_IJNSG_IJLi1ELi2EEEES18_S17_NSG_IJLi5ELi6EEEENSG_IJLi7EEEEEEENSG_IJLi5ELi7ELi6EEEElEES1F_NS6_IJNSQ_INS6_IJSW_SY_SY_NSZ_INS6_IJiNST_IiLi64EEEEEELb0EEES1I_EEENS6_IJS14_S15_S16_S18_S17_EEENS6_IJS1A_S18_S17_S1B_NSG_IJLi7ELi8EEEEEEENSG_IJLi5ELi6ELi7ELi8EEEElEES1O_EEES1O_NS_31BlockToCTileMap_M00_N0_M01AdaptILi64ELi64ENSQ_INS6_IJSW_SY_SY_EEENS6_IJS14_S15_S16_EEENS6_IJS1A_S18_S17_EEENSG_IJLi3ELi4EEEElEEiEELb1ELi2EEEvPKT0_PKT1_T2_PT3_T4_T5_T6_T7_T8_T9_T10_T11_ ; -- Begin function _ZN2ck51kernel_gemm_multiple_d_xdl_cshuffle_lds_direct_loadINS_48GridwiseGemmMultipleD_Xdl_CShuffle_LdsDirectLoadINS_13tensor_layout4gemm8RowMajorENS3_11ColumnMajorENS_5TupleIJS4_S4_EEES4_fffffNS6_IJffEEEfNS_16tensor_operation12element_wise11PassThroughESB_NSA_14AddAddFastGeluELNS_25InMemoryDataOperationEnumE0ELNS9_6device18GemmSpecializationE0ELi1ELi64ELi64ELi64ELi64ELi8ELi8ELi16ELi16ELi4ELi2ENS_8SequenceIJLi8ELi1ELi8EEEENSG_IJLi1ELi0ELi2EEEELi2ELi1ELi0ESH_SI_Li2ELi1ELi0ELi2ELi2ENSG_IJLi1ELi8ELi1ELi8EEEELi4ELNS_13LoopSchedulerE0ELNS_15PipelineVersionE2EfEEffNS6_IJPKfSO_EEEfSB_SB_SC_NS_16TensorDescriptorINS6_IJNS_5EmbedINS6_IJiiEEENS6_IJiNS_17integral_constantIiLi1EEEEEELb0EEENS_11PassThroughIiEESY_NS_7UnMergeINS6_IJiNST_IiLi8EEEEEELb0EEESY_EEENS6_IJNSG_IJLi0EEEENSG_IJLi1EEEENSG_IJLi2EEEENSG_IJLi4EEEENSG_IJLi3EEEEEEENS6_IJNSG_IJLi1ELi2EEEES18_S17_NSG_IJLi5ELi6EEEENSG_IJLi7EEEEEEENSG_IJLi5ELi7ELi6EEEElEES1F_NS6_IJNSQ_INS6_IJSW_SY_SY_NSZ_INS6_IJiNST_IiLi64EEEEEELb0EEES1I_EEENS6_IJS14_S15_S16_S18_S17_EEENS6_IJS1A_S18_S17_S1B_NSG_IJLi7ELi8EEEEEEENSG_IJLi5ELi6ELi7ELi8EEEElEES1O_EEES1O_NS_31BlockToCTileMap_M00_N0_M01AdaptILi64ELi64ENSQ_INS6_IJSW_SY_SY_EEENS6_IJS14_S15_S16_EEENS6_IJS1A_S18_S17_EEENSG_IJLi3ELi4EEEElEEiEELb1ELi2EEEvPKT0_PKT1_T2_PT3_T4_T5_T6_T7_T8_T9_T10_T11_
	.globl	_ZN2ck51kernel_gemm_multiple_d_xdl_cshuffle_lds_direct_loadINS_48GridwiseGemmMultipleD_Xdl_CShuffle_LdsDirectLoadINS_13tensor_layout4gemm8RowMajorENS3_11ColumnMajorENS_5TupleIJS4_S4_EEES4_fffffNS6_IJffEEEfNS_16tensor_operation12element_wise11PassThroughESB_NSA_14AddAddFastGeluELNS_25InMemoryDataOperationEnumE0ELNS9_6device18GemmSpecializationE0ELi1ELi64ELi64ELi64ELi64ELi8ELi8ELi16ELi16ELi4ELi2ENS_8SequenceIJLi8ELi1ELi8EEEENSG_IJLi1ELi0ELi2EEEELi2ELi1ELi0ESH_SI_Li2ELi1ELi0ELi2ELi2ENSG_IJLi1ELi8ELi1ELi8EEEELi4ELNS_13LoopSchedulerE0ELNS_15PipelineVersionE2EfEEffNS6_IJPKfSO_EEEfSB_SB_SC_NS_16TensorDescriptorINS6_IJNS_5EmbedINS6_IJiiEEENS6_IJiNS_17integral_constantIiLi1EEEEEELb0EEENS_11PassThroughIiEESY_NS_7UnMergeINS6_IJiNST_IiLi8EEEEEELb0EEESY_EEENS6_IJNSG_IJLi0EEEENSG_IJLi1EEEENSG_IJLi2EEEENSG_IJLi4EEEENSG_IJLi3EEEEEEENS6_IJNSG_IJLi1ELi2EEEES18_S17_NSG_IJLi5ELi6EEEENSG_IJLi7EEEEEEENSG_IJLi5ELi7ELi6EEEElEES1F_NS6_IJNSQ_INS6_IJSW_SY_SY_NSZ_INS6_IJiNST_IiLi64EEEEEELb0EEES1I_EEENS6_IJS14_S15_S16_S18_S17_EEENS6_IJS1A_S18_S17_S1B_NSG_IJLi7ELi8EEEEEEENSG_IJLi5ELi6ELi7ELi8EEEElEES1O_EEES1O_NS_31BlockToCTileMap_M00_N0_M01AdaptILi64ELi64ENSQ_INS6_IJSW_SY_SY_EEENS6_IJS14_S15_S16_EEENS6_IJS1A_S18_S17_EEENSG_IJLi3ELi4EEEElEEiEELb1ELi2EEEvPKT0_PKT1_T2_PT3_T4_T5_T6_T7_T8_T9_T10_T11_
	.p2align	8
	.type	_ZN2ck51kernel_gemm_multiple_d_xdl_cshuffle_lds_direct_loadINS_48GridwiseGemmMultipleD_Xdl_CShuffle_LdsDirectLoadINS_13tensor_layout4gemm8RowMajorENS3_11ColumnMajorENS_5TupleIJS4_S4_EEES4_fffffNS6_IJffEEEfNS_16tensor_operation12element_wise11PassThroughESB_NSA_14AddAddFastGeluELNS_25InMemoryDataOperationEnumE0ELNS9_6device18GemmSpecializationE0ELi1ELi64ELi64ELi64ELi64ELi8ELi8ELi16ELi16ELi4ELi2ENS_8SequenceIJLi8ELi1ELi8EEEENSG_IJLi1ELi0ELi2EEEELi2ELi1ELi0ESH_SI_Li2ELi1ELi0ELi2ELi2ENSG_IJLi1ELi8ELi1ELi8EEEELi4ELNS_13LoopSchedulerE0ELNS_15PipelineVersionE2EfEEffNS6_IJPKfSO_EEEfSB_SB_SC_NS_16TensorDescriptorINS6_IJNS_5EmbedINS6_IJiiEEENS6_IJiNS_17integral_constantIiLi1EEEEEELb0EEENS_11PassThroughIiEESY_NS_7UnMergeINS6_IJiNST_IiLi8EEEEEELb0EEESY_EEENS6_IJNSG_IJLi0EEEENSG_IJLi1EEEENSG_IJLi2EEEENSG_IJLi4EEEENSG_IJLi3EEEEEEENS6_IJNSG_IJLi1ELi2EEEES18_S17_NSG_IJLi5ELi6EEEENSG_IJLi7EEEEEEENSG_IJLi5ELi7ELi6EEEElEES1F_NS6_IJNSQ_INS6_IJSW_SY_SY_NSZ_INS6_IJiNST_IiLi64EEEEEELb0EEES1I_EEENS6_IJS14_S15_S16_S18_S17_EEENS6_IJS1A_S18_S17_S1B_NSG_IJLi7ELi8EEEEEEENSG_IJLi5ELi6ELi7ELi8EEEElEES1O_EEES1O_NS_31BlockToCTileMap_M00_N0_M01AdaptILi64ELi64ENSQ_INS6_IJSW_SY_SY_EEENS6_IJS14_S15_S16_EEENS6_IJS1A_S18_S17_EEENSG_IJLi3ELi4EEEElEEiEELb1ELi2EEEvPKT0_PKT1_T2_PT3_T4_T5_T6_T7_T8_T9_T10_T11_,@function
_ZN2ck51kernel_gemm_multiple_d_xdl_cshuffle_lds_direct_loadINS_48GridwiseGemmMultipleD_Xdl_CShuffle_LdsDirectLoadINS_13tensor_layout4gemm8RowMajorENS3_11ColumnMajorENS_5TupleIJS4_S4_EEES4_fffffNS6_IJffEEEfNS_16tensor_operation12element_wise11PassThroughESB_NSA_14AddAddFastGeluELNS_25InMemoryDataOperationEnumE0ELNS9_6device18GemmSpecializationE0ELi1ELi64ELi64ELi64ELi64ELi8ELi8ELi16ELi16ELi4ELi2ENS_8SequenceIJLi8ELi1ELi8EEEENSG_IJLi1ELi0ELi2EEEELi2ELi1ELi0ESH_SI_Li2ELi1ELi0ELi2ELi2ENSG_IJLi1ELi8ELi1ELi8EEEELi4ELNS_13LoopSchedulerE0ELNS_15PipelineVersionE2EfEEffNS6_IJPKfSO_EEEfSB_SB_SC_NS_16TensorDescriptorINS6_IJNS_5EmbedINS6_IJiiEEENS6_IJiNS_17integral_constantIiLi1EEEEEELb0EEENS_11PassThroughIiEESY_NS_7UnMergeINS6_IJiNST_IiLi8EEEEEELb0EEESY_EEENS6_IJNSG_IJLi0EEEENSG_IJLi1EEEENSG_IJLi2EEEENSG_IJLi4EEEENSG_IJLi3EEEEEEENS6_IJNSG_IJLi1ELi2EEEES18_S17_NSG_IJLi5ELi6EEEENSG_IJLi7EEEEEEENSG_IJLi5ELi7ELi6EEEElEES1F_NS6_IJNSQ_INS6_IJSW_SY_SY_NSZ_INS6_IJiNST_IiLi64EEEEEELb0EEES1I_EEENS6_IJS14_S15_S16_S18_S17_EEENS6_IJS1A_S18_S17_S1B_NSG_IJLi7ELi8EEEEEEENSG_IJLi5ELi6ELi7ELi8EEEElEES1O_EEES1O_NS_31BlockToCTileMap_M00_N0_M01AdaptILi64ELi64ENSQ_INS6_IJSW_SY_SY_EEENS6_IJS14_S15_S16_EEENS6_IJS1A_S18_S17_EEENSG_IJLi3ELi4EEEElEEiEELb1ELi2EEEvPKT0_PKT1_T2_PT3_T4_T5_T6_T7_T8_T9_T10_T11_: ; @_ZN2ck51kernel_gemm_multiple_d_xdl_cshuffle_lds_direct_loadINS_48GridwiseGemmMultipleD_Xdl_CShuffle_LdsDirectLoadINS_13tensor_layout4gemm8RowMajorENS3_11ColumnMajorENS_5TupleIJS4_S4_EEES4_fffffNS6_IJffEEEfNS_16tensor_operation12element_wise11PassThroughESB_NSA_14AddAddFastGeluELNS_25InMemoryDataOperationEnumE0ELNS9_6device18GemmSpecializationE0ELi1ELi64ELi64ELi64ELi64ELi8ELi8ELi16ELi16ELi4ELi2ENS_8SequenceIJLi8ELi1ELi8EEEENSG_IJLi1ELi0ELi2EEEELi2ELi1ELi0ESH_SI_Li2ELi1ELi0ELi2ELi2ENSG_IJLi1ELi8ELi1ELi8EEEELi4ELNS_13LoopSchedulerE0ELNS_15PipelineVersionE2EfEEffNS6_IJPKfSO_EEEfSB_SB_SC_NS_16TensorDescriptorINS6_IJNS_5EmbedINS6_IJiiEEENS6_IJiNS_17integral_constantIiLi1EEEEEELb0EEENS_11PassThroughIiEESY_NS_7UnMergeINS6_IJiNST_IiLi8EEEEEELb0EEESY_EEENS6_IJNSG_IJLi0EEEENSG_IJLi1EEEENSG_IJLi2EEEENSG_IJLi4EEEENSG_IJLi3EEEEEEENS6_IJNSG_IJLi1ELi2EEEES18_S17_NSG_IJLi5ELi6EEEENSG_IJLi7EEEEEEENSG_IJLi5ELi7ELi6EEEElEES1F_NS6_IJNSQ_INS6_IJSW_SY_SY_NSZ_INS6_IJiNST_IiLi64EEEEEELb0EEES1I_EEENS6_IJS14_S15_S16_S18_S17_EEENS6_IJS1A_S18_S17_S1B_NSG_IJLi7ELi8EEEEEEENSG_IJLi5ELi6ELi7ELi8EEEElEES1O_EEES1O_NS_31BlockToCTileMap_M00_N0_M01AdaptILi64ELi64ENSQ_INS6_IJSW_SY_SY_EEENS6_IJS14_S15_S16_EEENS6_IJS1A_S18_S17_EEENSG_IJLi3ELi4EEEElEEiEELb1ELi2EEEvPKT0_PKT1_T2_PT3_T4_T5_T6_T7_T8_T9_T10_T11_
; %bb.0:
	s_endpgm
	.section	.rodata,"a",@progbits
	.p2align	6, 0x0
	.amdhsa_kernel _ZN2ck51kernel_gemm_multiple_d_xdl_cshuffle_lds_direct_loadINS_48GridwiseGemmMultipleD_Xdl_CShuffle_LdsDirectLoadINS_13tensor_layout4gemm8RowMajorENS3_11ColumnMajorENS_5TupleIJS4_S4_EEES4_fffffNS6_IJffEEEfNS_16tensor_operation12element_wise11PassThroughESB_NSA_14AddAddFastGeluELNS_25InMemoryDataOperationEnumE0ELNS9_6device18GemmSpecializationE0ELi1ELi64ELi64ELi64ELi64ELi8ELi8ELi16ELi16ELi4ELi2ENS_8SequenceIJLi8ELi1ELi8EEEENSG_IJLi1ELi0ELi2EEEELi2ELi1ELi0ESH_SI_Li2ELi1ELi0ELi2ELi2ENSG_IJLi1ELi8ELi1ELi8EEEELi4ELNS_13LoopSchedulerE0ELNS_15PipelineVersionE2EfEEffNS6_IJPKfSO_EEEfSB_SB_SC_NS_16TensorDescriptorINS6_IJNS_5EmbedINS6_IJiiEEENS6_IJiNS_17integral_constantIiLi1EEEEEELb0EEENS_11PassThroughIiEESY_NS_7UnMergeINS6_IJiNST_IiLi8EEEEEELb0EEESY_EEENS6_IJNSG_IJLi0EEEENSG_IJLi1EEEENSG_IJLi2EEEENSG_IJLi4EEEENSG_IJLi3EEEEEEENS6_IJNSG_IJLi1ELi2EEEES18_S17_NSG_IJLi5ELi6EEEENSG_IJLi7EEEEEEENSG_IJLi5ELi7ELi6EEEElEES1F_NS6_IJNSQ_INS6_IJSW_SY_SY_NSZ_INS6_IJiNST_IiLi64EEEEEELb0EEES1I_EEENS6_IJS14_S15_S16_S18_S17_EEENS6_IJS1A_S18_S17_S1B_NSG_IJLi7ELi8EEEEEEENSG_IJLi5ELi6ELi7ELi8EEEElEES1O_EEES1O_NS_31BlockToCTileMap_M00_N0_M01AdaptILi64ELi64ENSQ_INS6_IJSW_SY_SY_EEENS6_IJS14_S15_S16_EEENS6_IJS1A_S18_S17_EEENSG_IJLi3ELi4EEEElEEiEELb1ELi2EEEvPKT0_PKT1_T2_PT3_T4_T5_T6_T7_T8_T9_T10_T11_
		.amdhsa_group_segment_fixed_size 0
		.amdhsa_private_segment_fixed_size 0
		.amdhsa_kernarg_size 364
		.amdhsa_user_sgpr_count 2
		.amdhsa_user_sgpr_dispatch_ptr 0
		.amdhsa_user_sgpr_queue_ptr 0
		.amdhsa_user_sgpr_kernarg_segment_ptr 1
		.amdhsa_user_sgpr_dispatch_id 0
		.amdhsa_user_sgpr_kernarg_preload_length 0
		.amdhsa_user_sgpr_kernarg_preload_offset 0
		.amdhsa_user_sgpr_private_segment_size 0
		.amdhsa_uses_dynamic_stack 0
		.amdhsa_enable_private_segment 0
		.amdhsa_system_sgpr_workgroup_id_x 1
		.amdhsa_system_sgpr_workgroup_id_y 0
		.amdhsa_system_sgpr_workgroup_id_z 0
		.amdhsa_system_sgpr_workgroup_info 0
		.amdhsa_system_vgpr_workitem_id 0
		.amdhsa_next_free_vgpr 1
		.amdhsa_next_free_sgpr 0
		.amdhsa_accum_offset 4
		.amdhsa_reserve_vcc 0
		.amdhsa_float_round_mode_32 0
		.amdhsa_float_round_mode_16_64 0
		.amdhsa_float_denorm_mode_32 3
		.amdhsa_float_denorm_mode_16_64 3
		.amdhsa_dx10_clamp 1
		.amdhsa_ieee_mode 1
		.amdhsa_fp16_overflow 0
		.amdhsa_tg_split 0
		.amdhsa_exception_fp_ieee_invalid_op 0
		.amdhsa_exception_fp_denorm_src 0
		.amdhsa_exception_fp_ieee_div_zero 0
		.amdhsa_exception_fp_ieee_overflow 0
		.amdhsa_exception_fp_ieee_underflow 0
		.amdhsa_exception_fp_ieee_inexact 0
		.amdhsa_exception_int_div_zero 0
	.end_amdhsa_kernel
	.section	.text._ZN2ck51kernel_gemm_multiple_d_xdl_cshuffle_lds_direct_loadINS_48GridwiseGemmMultipleD_Xdl_CShuffle_LdsDirectLoadINS_13tensor_layout4gemm8RowMajorENS3_11ColumnMajorENS_5TupleIJS4_S4_EEES4_fffffNS6_IJffEEEfNS_16tensor_operation12element_wise11PassThroughESB_NSA_14AddAddFastGeluELNS_25InMemoryDataOperationEnumE0ELNS9_6device18GemmSpecializationE0ELi1ELi64ELi64ELi64ELi64ELi8ELi8ELi16ELi16ELi4ELi2ENS_8SequenceIJLi8ELi1ELi8EEEENSG_IJLi1ELi0ELi2EEEELi2ELi1ELi0ESH_SI_Li2ELi1ELi0ELi2ELi2ENSG_IJLi1ELi8ELi1ELi8EEEELi4ELNS_13LoopSchedulerE0ELNS_15PipelineVersionE2EfEEffNS6_IJPKfSO_EEEfSB_SB_SC_NS_16TensorDescriptorINS6_IJNS_5EmbedINS6_IJiiEEENS6_IJiNS_17integral_constantIiLi1EEEEEELb0EEENS_11PassThroughIiEESY_NS_7UnMergeINS6_IJiNST_IiLi8EEEEEELb0EEESY_EEENS6_IJNSG_IJLi0EEEENSG_IJLi1EEEENSG_IJLi2EEEENSG_IJLi4EEEENSG_IJLi3EEEEEEENS6_IJNSG_IJLi1ELi2EEEES18_S17_NSG_IJLi5ELi6EEEENSG_IJLi7EEEEEEENSG_IJLi5ELi7ELi6EEEElEES1F_NS6_IJNSQ_INS6_IJSW_SY_SY_NSZ_INS6_IJiNST_IiLi64EEEEEELb0EEES1I_EEENS6_IJS14_S15_S16_S18_S17_EEENS6_IJS1A_S18_S17_S1B_NSG_IJLi7ELi8EEEEEEENSG_IJLi5ELi6ELi7ELi8EEEElEES1O_EEES1O_NS_31BlockToCTileMap_M00_N0_M01AdaptILi64ELi64ENSQ_INS6_IJSW_SY_SY_EEENS6_IJS14_S15_S16_EEENS6_IJS1A_S18_S17_EEENSG_IJLi3ELi4EEEElEEiEELb1ELi2EEEvPKT0_PKT1_T2_PT3_T4_T5_T6_T7_T8_T9_T10_T11_,"axG",@progbits,_ZN2ck51kernel_gemm_multiple_d_xdl_cshuffle_lds_direct_loadINS_48GridwiseGemmMultipleD_Xdl_CShuffle_LdsDirectLoadINS_13tensor_layout4gemm8RowMajorENS3_11ColumnMajorENS_5TupleIJS4_S4_EEES4_fffffNS6_IJffEEEfNS_16tensor_operation12element_wise11PassThroughESB_NSA_14AddAddFastGeluELNS_25InMemoryDataOperationEnumE0ELNS9_6device18GemmSpecializationE0ELi1ELi64ELi64ELi64ELi64ELi8ELi8ELi16ELi16ELi4ELi2ENS_8SequenceIJLi8ELi1ELi8EEEENSG_IJLi1ELi0ELi2EEEELi2ELi1ELi0ESH_SI_Li2ELi1ELi0ELi2ELi2ENSG_IJLi1ELi8ELi1ELi8EEEELi4ELNS_13LoopSchedulerE0ELNS_15PipelineVersionE2EfEEffNS6_IJPKfSO_EEEfSB_SB_SC_NS_16TensorDescriptorINS6_IJNS_5EmbedINS6_IJiiEEENS6_IJiNS_17integral_constantIiLi1EEEEEELb0EEENS_11PassThroughIiEESY_NS_7UnMergeINS6_IJiNST_IiLi8EEEEEELb0EEESY_EEENS6_IJNSG_IJLi0EEEENSG_IJLi1EEEENSG_IJLi2EEEENSG_IJLi4EEEENSG_IJLi3EEEEEEENS6_IJNSG_IJLi1ELi2EEEES18_S17_NSG_IJLi5ELi6EEEENSG_IJLi7EEEEEEENSG_IJLi5ELi7ELi6EEEElEES1F_NS6_IJNSQ_INS6_IJSW_SY_SY_NSZ_INS6_IJiNST_IiLi64EEEEEELb0EEES1I_EEENS6_IJS14_S15_S16_S18_S17_EEENS6_IJS1A_S18_S17_S1B_NSG_IJLi7ELi8EEEEEEENSG_IJLi5ELi6ELi7ELi8EEEElEES1O_EEES1O_NS_31BlockToCTileMap_M00_N0_M01AdaptILi64ELi64ENSQ_INS6_IJSW_SY_SY_EEENS6_IJS14_S15_S16_EEENS6_IJS1A_S18_S17_EEENSG_IJLi3ELi4EEEElEEiEELb1ELi2EEEvPKT0_PKT1_T2_PT3_T4_T5_T6_T7_T8_T9_T10_T11_,comdat
.Lfunc_end3:
	.size	_ZN2ck51kernel_gemm_multiple_d_xdl_cshuffle_lds_direct_loadINS_48GridwiseGemmMultipleD_Xdl_CShuffle_LdsDirectLoadINS_13tensor_layout4gemm8RowMajorENS3_11ColumnMajorENS_5TupleIJS4_S4_EEES4_fffffNS6_IJffEEEfNS_16tensor_operation12element_wise11PassThroughESB_NSA_14AddAddFastGeluELNS_25InMemoryDataOperationEnumE0ELNS9_6device18GemmSpecializationE0ELi1ELi64ELi64ELi64ELi64ELi8ELi8ELi16ELi16ELi4ELi2ENS_8SequenceIJLi8ELi1ELi8EEEENSG_IJLi1ELi0ELi2EEEELi2ELi1ELi0ESH_SI_Li2ELi1ELi0ELi2ELi2ENSG_IJLi1ELi8ELi1ELi8EEEELi4ELNS_13LoopSchedulerE0ELNS_15PipelineVersionE2EfEEffNS6_IJPKfSO_EEEfSB_SB_SC_NS_16TensorDescriptorINS6_IJNS_5EmbedINS6_IJiiEEENS6_IJiNS_17integral_constantIiLi1EEEEEELb0EEENS_11PassThroughIiEESY_NS_7UnMergeINS6_IJiNST_IiLi8EEEEEELb0EEESY_EEENS6_IJNSG_IJLi0EEEENSG_IJLi1EEEENSG_IJLi2EEEENSG_IJLi4EEEENSG_IJLi3EEEEEEENS6_IJNSG_IJLi1ELi2EEEES18_S17_NSG_IJLi5ELi6EEEENSG_IJLi7EEEEEEENSG_IJLi5ELi7ELi6EEEElEES1F_NS6_IJNSQ_INS6_IJSW_SY_SY_NSZ_INS6_IJiNST_IiLi64EEEEEELb0EEES1I_EEENS6_IJS14_S15_S16_S18_S17_EEENS6_IJS1A_S18_S17_S1B_NSG_IJLi7ELi8EEEEEEENSG_IJLi5ELi6ELi7ELi8EEEElEES1O_EEES1O_NS_31BlockToCTileMap_M00_N0_M01AdaptILi64ELi64ENSQ_INS6_IJSW_SY_SY_EEENS6_IJS14_S15_S16_EEENS6_IJS1A_S18_S17_EEENSG_IJLi3ELi4EEEElEEiEELb1ELi2EEEvPKT0_PKT1_T2_PT3_T4_T5_T6_T7_T8_T9_T10_T11_, .Lfunc_end3-_ZN2ck51kernel_gemm_multiple_d_xdl_cshuffle_lds_direct_loadINS_48GridwiseGemmMultipleD_Xdl_CShuffle_LdsDirectLoadINS_13tensor_layout4gemm8RowMajorENS3_11ColumnMajorENS_5TupleIJS4_S4_EEES4_fffffNS6_IJffEEEfNS_16tensor_operation12element_wise11PassThroughESB_NSA_14AddAddFastGeluELNS_25InMemoryDataOperationEnumE0ELNS9_6device18GemmSpecializationE0ELi1ELi64ELi64ELi64ELi64ELi8ELi8ELi16ELi16ELi4ELi2ENS_8SequenceIJLi8ELi1ELi8EEEENSG_IJLi1ELi0ELi2EEEELi2ELi1ELi0ESH_SI_Li2ELi1ELi0ELi2ELi2ENSG_IJLi1ELi8ELi1ELi8EEEELi4ELNS_13LoopSchedulerE0ELNS_15PipelineVersionE2EfEEffNS6_IJPKfSO_EEEfSB_SB_SC_NS_16TensorDescriptorINS6_IJNS_5EmbedINS6_IJiiEEENS6_IJiNS_17integral_constantIiLi1EEEEEELb0EEENS_11PassThroughIiEESY_NS_7UnMergeINS6_IJiNST_IiLi8EEEEEELb0EEESY_EEENS6_IJNSG_IJLi0EEEENSG_IJLi1EEEENSG_IJLi2EEEENSG_IJLi4EEEENSG_IJLi3EEEEEEENS6_IJNSG_IJLi1ELi2EEEES18_S17_NSG_IJLi5ELi6EEEENSG_IJLi7EEEEEEENSG_IJLi5ELi7ELi6EEEElEES1F_NS6_IJNSQ_INS6_IJSW_SY_SY_NSZ_INS6_IJiNST_IiLi64EEEEEELb0EEES1I_EEENS6_IJS14_S15_S16_S18_S17_EEENS6_IJS1A_S18_S17_S1B_NSG_IJLi7ELi8EEEEEEENSG_IJLi5ELi6ELi7ELi8EEEElEES1O_EEES1O_NS_31BlockToCTileMap_M00_N0_M01AdaptILi64ELi64ENSQ_INS6_IJSW_SY_SY_EEENS6_IJS14_S15_S16_EEENS6_IJS1A_S18_S17_EEENSG_IJLi3ELi4EEEElEEiEELb1ELi2EEEvPKT0_PKT1_T2_PT3_T4_T5_T6_T7_T8_T9_T10_T11_
                                        ; -- End function
	.set _ZN2ck51kernel_gemm_multiple_d_xdl_cshuffle_lds_direct_loadINS_48GridwiseGemmMultipleD_Xdl_CShuffle_LdsDirectLoadINS_13tensor_layout4gemm8RowMajorENS3_11ColumnMajorENS_5TupleIJS4_S4_EEES4_fffffNS6_IJffEEEfNS_16tensor_operation12element_wise11PassThroughESB_NSA_14AddAddFastGeluELNS_25InMemoryDataOperationEnumE0ELNS9_6device18GemmSpecializationE0ELi1ELi64ELi64ELi64ELi64ELi8ELi8ELi16ELi16ELi4ELi2ENS_8SequenceIJLi8ELi1ELi8EEEENSG_IJLi1ELi0ELi2EEEELi2ELi1ELi0ESH_SI_Li2ELi1ELi0ELi2ELi2ENSG_IJLi1ELi8ELi1ELi8EEEELi4ELNS_13LoopSchedulerE0ELNS_15PipelineVersionE2EfEEffNS6_IJPKfSO_EEEfSB_SB_SC_NS_16TensorDescriptorINS6_IJNS_5EmbedINS6_IJiiEEENS6_IJiNS_17integral_constantIiLi1EEEEEELb0EEENS_11PassThroughIiEESY_NS_7UnMergeINS6_IJiNST_IiLi8EEEEEELb0EEESY_EEENS6_IJNSG_IJLi0EEEENSG_IJLi1EEEENSG_IJLi2EEEENSG_IJLi4EEEENSG_IJLi3EEEEEEENS6_IJNSG_IJLi1ELi2EEEES18_S17_NSG_IJLi5ELi6EEEENSG_IJLi7EEEEEEENSG_IJLi5ELi7ELi6EEEElEES1F_NS6_IJNSQ_INS6_IJSW_SY_SY_NSZ_INS6_IJiNST_IiLi64EEEEEELb0EEES1I_EEENS6_IJS14_S15_S16_S18_S17_EEENS6_IJS1A_S18_S17_S1B_NSG_IJLi7ELi8EEEEEEENSG_IJLi5ELi6ELi7ELi8EEEElEES1O_EEES1O_NS_31BlockToCTileMap_M00_N0_M01AdaptILi64ELi64ENSQ_INS6_IJSW_SY_SY_EEENS6_IJS14_S15_S16_EEENS6_IJS1A_S18_S17_EEENSG_IJLi3ELi4EEEElEEiEELb1ELi2EEEvPKT0_PKT1_T2_PT3_T4_T5_T6_T7_T8_T9_T10_T11_.num_vgpr, 0
	.set _ZN2ck51kernel_gemm_multiple_d_xdl_cshuffle_lds_direct_loadINS_48GridwiseGemmMultipleD_Xdl_CShuffle_LdsDirectLoadINS_13tensor_layout4gemm8RowMajorENS3_11ColumnMajorENS_5TupleIJS4_S4_EEES4_fffffNS6_IJffEEEfNS_16tensor_operation12element_wise11PassThroughESB_NSA_14AddAddFastGeluELNS_25InMemoryDataOperationEnumE0ELNS9_6device18GemmSpecializationE0ELi1ELi64ELi64ELi64ELi64ELi8ELi8ELi16ELi16ELi4ELi2ENS_8SequenceIJLi8ELi1ELi8EEEENSG_IJLi1ELi0ELi2EEEELi2ELi1ELi0ESH_SI_Li2ELi1ELi0ELi2ELi2ENSG_IJLi1ELi8ELi1ELi8EEEELi4ELNS_13LoopSchedulerE0ELNS_15PipelineVersionE2EfEEffNS6_IJPKfSO_EEEfSB_SB_SC_NS_16TensorDescriptorINS6_IJNS_5EmbedINS6_IJiiEEENS6_IJiNS_17integral_constantIiLi1EEEEEELb0EEENS_11PassThroughIiEESY_NS_7UnMergeINS6_IJiNST_IiLi8EEEEEELb0EEESY_EEENS6_IJNSG_IJLi0EEEENSG_IJLi1EEEENSG_IJLi2EEEENSG_IJLi4EEEENSG_IJLi3EEEEEEENS6_IJNSG_IJLi1ELi2EEEES18_S17_NSG_IJLi5ELi6EEEENSG_IJLi7EEEEEEENSG_IJLi5ELi7ELi6EEEElEES1F_NS6_IJNSQ_INS6_IJSW_SY_SY_NSZ_INS6_IJiNST_IiLi64EEEEEELb0EEES1I_EEENS6_IJS14_S15_S16_S18_S17_EEENS6_IJS1A_S18_S17_S1B_NSG_IJLi7ELi8EEEEEEENSG_IJLi5ELi6ELi7ELi8EEEElEES1O_EEES1O_NS_31BlockToCTileMap_M00_N0_M01AdaptILi64ELi64ENSQ_INS6_IJSW_SY_SY_EEENS6_IJS14_S15_S16_EEENS6_IJS1A_S18_S17_EEENSG_IJLi3ELi4EEEElEEiEELb1ELi2EEEvPKT0_PKT1_T2_PT3_T4_T5_T6_T7_T8_T9_T10_T11_.num_agpr, 0
	.set _ZN2ck51kernel_gemm_multiple_d_xdl_cshuffle_lds_direct_loadINS_48GridwiseGemmMultipleD_Xdl_CShuffle_LdsDirectLoadINS_13tensor_layout4gemm8RowMajorENS3_11ColumnMajorENS_5TupleIJS4_S4_EEES4_fffffNS6_IJffEEEfNS_16tensor_operation12element_wise11PassThroughESB_NSA_14AddAddFastGeluELNS_25InMemoryDataOperationEnumE0ELNS9_6device18GemmSpecializationE0ELi1ELi64ELi64ELi64ELi64ELi8ELi8ELi16ELi16ELi4ELi2ENS_8SequenceIJLi8ELi1ELi8EEEENSG_IJLi1ELi0ELi2EEEELi2ELi1ELi0ESH_SI_Li2ELi1ELi0ELi2ELi2ENSG_IJLi1ELi8ELi1ELi8EEEELi4ELNS_13LoopSchedulerE0ELNS_15PipelineVersionE2EfEEffNS6_IJPKfSO_EEEfSB_SB_SC_NS_16TensorDescriptorINS6_IJNS_5EmbedINS6_IJiiEEENS6_IJiNS_17integral_constantIiLi1EEEEEELb0EEENS_11PassThroughIiEESY_NS_7UnMergeINS6_IJiNST_IiLi8EEEEEELb0EEESY_EEENS6_IJNSG_IJLi0EEEENSG_IJLi1EEEENSG_IJLi2EEEENSG_IJLi4EEEENSG_IJLi3EEEEEEENS6_IJNSG_IJLi1ELi2EEEES18_S17_NSG_IJLi5ELi6EEEENSG_IJLi7EEEEEEENSG_IJLi5ELi7ELi6EEEElEES1F_NS6_IJNSQ_INS6_IJSW_SY_SY_NSZ_INS6_IJiNST_IiLi64EEEEEELb0EEES1I_EEENS6_IJS14_S15_S16_S18_S17_EEENS6_IJS1A_S18_S17_S1B_NSG_IJLi7ELi8EEEEEEENSG_IJLi5ELi6ELi7ELi8EEEElEES1O_EEES1O_NS_31BlockToCTileMap_M00_N0_M01AdaptILi64ELi64ENSQ_INS6_IJSW_SY_SY_EEENS6_IJS14_S15_S16_EEENS6_IJS1A_S18_S17_EEENSG_IJLi3ELi4EEEElEEiEELb1ELi2EEEvPKT0_PKT1_T2_PT3_T4_T5_T6_T7_T8_T9_T10_T11_.numbered_sgpr, 0
	.set _ZN2ck51kernel_gemm_multiple_d_xdl_cshuffle_lds_direct_loadINS_48GridwiseGemmMultipleD_Xdl_CShuffle_LdsDirectLoadINS_13tensor_layout4gemm8RowMajorENS3_11ColumnMajorENS_5TupleIJS4_S4_EEES4_fffffNS6_IJffEEEfNS_16tensor_operation12element_wise11PassThroughESB_NSA_14AddAddFastGeluELNS_25InMemoryDataOperationEnumE0ELNS9_6device18GemmSpecializationE0ELi1ELi64ELi64ELi64ELi64ELi8ELi8ELi16ELi16ELi4ELi2ENS_8SequenceIJLi8ELi1ELi8EEEENSG_IJLi1ELi0ELi2EEEELi2ELi1ELi0ESH_SI_Li2ELi1ELi0ELi2ELi2ENSG_IJLi1ELi8ELi1ELi8EEEELi4ELNS_13LoopSchedulerE0ELNS_15PipelineVersionE2EfEEffNS6_IJPKfSO_EEEfSB_SB_SC_NS_16TensorDescriptorINS6_IJNS_5EmbedINS6_IJiiEEENS6_IJiNS_17integral_constantIiLi1EEEEEELb0EEENS_11PassThroughIiEESY_NS_7UnMergeINS6_IJiNST_IiLi8EEEEEELb0EEESY_EEENS6_IJNSG_IJLi0EEEENSG_IJLi1EEEENSG_IJLi2EEEENSG_IJLi4EEEENSG_IJLi3EEEEEEENS6_IJNSG_IJLi1ELi2EEEES18_S17_NSG_IJLi5ELi6EEEENSG_IJLi7EEEEEEENSG_IJLi5ELi7ELi6EEEElEES1F_NS6_IJNSQ_INS6_IJSW_SY_SY_NSZ_INS6_IJiNST_IiLi64EEEEEELb0EEES1I_EEENS6_IJS14_S15_S16_S18_S17_EEENS6_IJS1A_S18_S17_S1B_NSG_IJLi7ELi8EEEEEEENSG_IJLi5ELi6ELi7ELi8EEEElEES1O_EEES1O_NS_31BlockToCTileMap_M00_N0_M01AdaptILi64ELi64ENSQ_INS6_IJSW_SY_SY_EEENS6_IJS14_S15_S16_EEENS6_IJS1A_S18_S17_EEENSG_IJLi3ELi4EEEElEEiEELb1ELi2EEEvPKT0_PKT1_T2_PT3_T4_T5_T6_T7_T8_T9_T10_T11_.num_named_barrier, 0
	.set _ZN2ck51kernel_gemm_multiple_d_xdl_cshuffle_lds_direct_loadINS_48GridwiseGemmMultipleD_Xdl_CShuffle_LdsDirectLoadINS_13tensor_layout4gemm8RowMajorENS3_11ColumnMajorENS_5TupleIJS4_S4_EEES4_fffffNS6_IJffEEEfNS_16tensor_operation12element_wise11PassThroughESB_NSA_14AddAddFastGeluELNS_25InMemoryDataOperationEnumE0ELNS9_6device18GemmSpecializationE0ELi1ELi64ELi64ELi64ELi64ELi8ELi8ELi16ELi16ELi4ELi2ENS_8SequenceIJLi8ELi1ELi8EEEENSG_IJLi1ELi0ELi2EEEELi2ELi1ELi0ESH_SI_Li2ELi1ELi0ELi2ELi2ENSG_IJLi1ELi8ELi1ELi8EEEELi4ELNS_13LoopSchedulerE0ELNS_15PipelineVersionE2EfEEffNS6_IJPKfSO_EEEfSB_SB_SC_NS_16TensorDescriptorINS6_IJNS_5EmbedINS6_IJiiEEENS6_IJiNS_17integral_constantIiLi1EEEEEELb0EEENS_11PassThroughIiEESY_NS_7UnMergeINS6_IJiNST_IiLi8EEEEEELb0EEESY_EEENS6_IJNSG_IJLi0EEEENSG_IJLi1EEEENSG_IJLi2EEEENSG_IJLi4EEEENSG_IJLi3EEEEEEENS6_IJNSG_IJLi1ELi2EEEES18_S17_NSG_IJLi5ELi6EEEENSG_IJLi7EEEEEEENSG_IJLi5ELi7ELi6EEEElEES1F_NS6_IJNSQ_INS6_IJSW_SY_SY_NSZ_INS6_IJiNST_IiLi64EEEEEELb0EEES1I_EEENS6_IJS14_S15_S16_S18_S17_EEENS6_IJS1A_S18_S17_S1B_NSG_IJLi7ELi8EEEEEEENSG_IJLi5ELi6ELi7ELi8EEEElEES1O_EEES1O_NS_31BlockToCTileMap_M00_N0_M01AdaptILi64ELi64ENSQ_INS6_IJSW_SY_SY_EEENS6_IJS14_S15_S16_EEENS6_IJS1A_S18_S17_EEENSG_IJLi3ELi4EEEElEEiEELb1ELi2EEEvPKT0_PKT1_T2_PT3_T4_T5_T6_T7_T8_T9_T10_T11_.private_seg_size, 0
	.set _ZN2ck51kernel_gemm_multiple_d_xdl_cshuffle_lds_direct_loadINS_48GridwiseGemmMultipleD_Xdl_CShuffle_LdsDirectLoadINS_13tensor_layout4gemm8RowMajorENS3_11ColumnMajorENS_5TupleIJS4_S4_EEES4_fffffNS6_IJffEEEfNS_16tensor_operation12element_wise11PassThroughESB_NSA_14AddAddFastGeluELNS_25InMemoryDataOperationEnumE0ELNS9_6device18GemmSpecializationE0ELi1ELi64ELi64ELi64ELi64ELi8ELi8ELi16ELi16ELi4ELi2ENS_8SequenceIJLi8ELi1ELi8EEEENSG_IJLi1ELi0ELi2EEEELi2ELi1ELi0ESH_SI_Li2ELi1ELi0ELi2ELi2ENSG_IJLi1ELi8ELi1ELi8EEEELi4ELNS_13LoopSchedulerE0ELNS_15PipelineVersionE2EfEEffNS6_IJPKfSO_EEEfSB_SB_SC_NS_16TensorDescriptorINS6_IJNS_5EmbedINS6_IJiiEEENS6_IJiNS_17integral_constantIiLi1EEEEEELb0EEENS_11PassThroughIiEESY_NS_7UnMergeINS6_IJiNST_IiLi8EEEEEELb0EEESY_EEENS6_IJNSG_IJLi0EEEENSG_IJLi1EEEENSG_IJLi2EEEENSG_IJLi4EEEENSG_IJLi3EEEEEEENS6_IJNSG_IJLi1ELi2EEEES18_S17_NSG_IJLi5ELi6EEEENSG_IJLi7EEEEEEENSG_IJLi5ELi7ELi6EEEElEES1F_NS6_IJNSQ_INS6_IJSW_SY_SY_NSZ_INS6_IJiNST_IiLi64EEEEEELb0EEES1I_EEENS6_IJS14_S15_S16_S18_S17_EEENS6_IJS1A_S18_S17_S1B_NSG_IJLi7ELi8EEEEEEENSG_IJLi5ELi6ELi7ELi8EEEElEES1O_EEES1O_NS_31BlockToCTileMap_M00_N0_M01AdaptILi64ELi64ENSQ_INS6_IJSW_SY_SY_EEENS6_IJS14_S15_S16_EEENS6_IJS1A_S18_S17_EEENSG_IJLi3ELi4EEEElEEiEELb1ELi2EEEvPKT0_PKT1_T2_PT3_T4_T5_T6_T7_T8_T9_T10_T11_.uses_vcc, 0
	.set _ZN2ck51kernel_gemm_multiple_d_xdl_cshuffle_lds_direct_loadINS_48GridwiseGemmMultipleD_Xdl_CShuffle_LdsDirectLoadINS_13tensor_layout4gemm8RowMajorENS3_11ColumnMajorENS_5TupleIJS4_S4_EEES4_fffffNS6_IJffEEEfNS_16tensor_operation12element_wise11PassThroughESB_NSA_14AddAddFastGeluELNS_25InMemoryDataOperationEnumE0ELNS9_6device18GemmSpecializationE0ELi1ELi64ELi64ELi64ELi64ELi8ELi8ELi16ELi16ELi4ELi2ENS_8SequenceIJLi8ELi1ELi8EEEENSG_IJLi1ELi0ELi2EEEELi2ELi1ELi0ESH_SI_Li2ELi1ELi0ELi2ELi2ENSG_IJLi1ELi8ELi1ELi8EEEELi4ELNS_13LoopSchedulerE0ELNS_15PipelineVersionE2EfEEffNS6_IJPKfSO_EEEfSB_SB_SC_NS_16TensorDescriptorINS6_IJNS_5EmbedINS6_IJiiEEENS6_IJiNS_17integral_constantIiLi1EEEEEELb0EEENS_11PassThroughIiEESY_NS_7UnMergeINS6_IJiNST_IiLi8EEEEEELb0EEESY_EEENS6_IJNSG_IJLi0EEEENSG_IJLi1EEEENSG_IJLi2EEEENSG_IJLi4EEEENSG_IJLi3EEEEEEENS6_IJNSG_IJLi1ELi2EEEES18_S17_NSG_IJLi5ELi6EEEENSG_IJLi7EEEEEEENSG_IJLi5ELi7ELi6EEEElEES1F_NS6_IJNSQ_INS6_IJSW_SY_SY_NSZ_INS6_IJiNST_IiLi64EEEEEELb0EEES1I_EEENS6_IJS14_S15_S16_S18_S17_EEENS6_IJS1A_S18_S17_S1B_NSG_IJLi7ELi8EEEEEEENSG_IJLi5ELi6ELi7ELi8EEEElEES1O_EEES1O_NS_31BlockToCTileMap_M00_N0_M01AdaptILi64ELi64ENSQ_INS6_IJSW_SY_SY_EEENS6_IJS14_S15_S16_EEENS6_IJS1A_S18_S17_EEENSG_IJLi3ELi4EEEElEEiEELb1ELi2EEEvPKT0_PKT1_T2_PT3_T4_T5_T6_T7_T8_T9_T10_T11_.uses_flat_scratch, 0
	.set _ZN2ck51kernel_gemm_multiple_d_xdl_cshuffle_lds_direct_loadINS_48GridwiseGemmMultipleD_Xdl_CShuffle_LdsDirectLoadINS_13tensor_layout4gemm8RowMajorENS3_11ColumnMajorENS_5TupleIJS4_S4_EEES4_fffffNS6_IJffEEEfNS_16tensor_operation12element_wise11PassThroughESB_NSA_14AddAddFastGeluELNS_25InMemoryDataOperationEnumE0ELNS9_6device18GemmSpecializationE0ELi1ELi64ELi64ELi64ELi64ELi8ELi8ELi16ELi16ELi4ELi2ENS_8SequenceIJLi8ELi1ELi8EEEENSG_IJLi1ELi0ELi2EEEELi2ELi1ELi0ESH_SI_Li2ELi1ELi0ELi2ELi2ENSG_IJLi1ELi8ELi1ELi8EEEELi4ELNS_13LoopSchedulerE0ELNS_15PipelineVersionE2EfEEffNS6_IJPKfSO_EEEfSB_SB_SC_NS_16TensorDescriptorINS6_IJNS_5EmbedINS6_IJiiEEENS6_IJiNS_17integral_constantIiLi1EEEEEELb0EEENS_11PassThroughIiEESY_NS_7UnMergeINS6_IJiNST_IiLi8EEEEEELb0EEESY_EEENS6_IJNSG_IJLi0EEEENSG_IJLi1EEEENSG_IJLi2EEEENSG_IJLi4EEEENSG_IJLi3EEEEEEENS6_IJNSG_IJLi1ELi2EEEES18_S17_NSG_IJLi5ELi6EEEENSG_IJLi7EEEEEEENSG_IJLi5ELi7ELi6EEEElEES1F_NS6_IJNSQ_INS6_IJSW_SY_SY_NSZ_INS6_IJiNST_IiLi64EEEEEELb0EEES1I_EEENS6_IJS14_S15_S16_S18_S17_EEENS6_IJS1A_S18_S17_S1B_NSG_IJLi7ELi8EEEEEEENSG_IJLi5ELi6ELi7ELi8EEEElEES1O_EEES1O_NS_31BlockToCTileMap_M00_N0_M01AdaptILi64ELi64ENSQ_INS6_IJSW_SY_SY_EEENS6_IJS14_S15_S16_EEENS6_IJS1A_S18_S17_EEENSG_IJLi3ELi4EEEElEEiEELb1ELi2EEEvPKT0_PKT1_T2_PT3_T4_T5_T6_T7_T8_T9_T10_T11_.has_dyn_sized_stack, 0
	.set _ZN2ck51kernel_gemm_multiple_d_xdl_cshuffle_lds_direct_loadINS_48GridwiseGemmMultipleD_Xdl_CShuffle_LdsDirectLoadINS_13tensor_layout4gemm8RowMajorENS3_11ColumnMajorENS_5TupleIJS4_S4_EEES4_fffffNS6_IJffEEEfNS_16tensor_operation12element_wise11PassThroughESB_NSA_14AddAddFastGeluELNS_25InMemoryDataOperationEnumE0ELNS9_6device18GemmSpecializationE0ELi1ELi64ELi64ELi64ELi64ELi8ELi8ELi16ELi16ELi4ELi2ENS_8SequenceIJLi8ELi1ELi8EEEENSG_IJLi1ELi0ELi2EEEELi2ELi1ELi0ESH_SI_Li2ELi1ELi0ELi2ELi2ENSG_IJLi1ELi8ELi1ELi8EEEELi4ELNS_13LoopSchedulerE0ELNS_15PipelineVersionE2EfEEffNS6_IJPKfSO_EEEfSB_SB_SC_NS_16TensorDescriptorINS6_IJNS_5EmbedINS6_IJiiEEENS6_IJiNS_17integral_constantIiLi1EEEEEELb0EEENS_11PassThroughIiEESY_NS_7UnMergeINS6_IJiNST_IiLi8EEEEEELb0EEESY_EEENS6_IJNSG_IJLi0EEEENSG_IJLi1EEEENSG_IJLi2EEEENSG_IJLi4EEEENSG_IJLi3EEEEEEENS6_IJNSG_IJLi1ELi2EEEES18_S17_NSG_IJLi5ELi6EEEENSG_IJLi7EEEEEEENSG_IJLi5ELi7ELi6EEEElEES1F_NS6_IJNSQ_INS6_IJSW_SY_SY_NSZ_INS6_IJiNST_IiLi64EEEEEELb0EEES1I_EEENS6_IJS14_S15_S16_S18_S17_EEENS6_IJS1A_S18_S17_S1B_NSG_IJLi7ELi8EEEEEEENSG_IJLi5ELi6ELi7ELi8EEEElEES1O_EEES1O_NS_31BlockToCTileMap_M00_N0_M01AdaptILi64ELi64ENSQ_INS6_IJSW_SY_SY_EEENS6_IJS14_S15_S16_EEENS6_IJS1A_S18_S17_EEENSG_IJLi3ELi4EEEElEEiEELb1ELi2EEEvPKT0_PKT1_T2_PT3_T4_T5_T6_T7_T8_T9_T10_T11_.has_recursion, 0
	.set _ZN2ck51kernel_gemm_multiple_d_xdl_cshuffle_lds_direct_loadINS_48GridwiseGemmMultipleD_Xdl_CShuffle_LdsDirectLoadINS_13tensor_layout4gemm8RowMajorENS3_11ColumnMajorENS_5TupleIJS4_S4_EEES4_fffffNS6_IJffEEEfNS_16tensor_operation12element_wise11PassThroughESB_NSA_14AddAddFastGeluELNS_25InMemoryDataOperationEnumE0ELNS9_6device18GemmSpecializationE0ELi1ELi64ELi64ELi64ELi64ELi8ELi8ELi16ELi16ELi4ELi2ENS_8SequenceIJLi8ELi1ELi8EEEENSG_IJLi1ELi0ELi2EEEELi2ELi1ELi0ESH_SI_Li2ELi1ELi0ELi2ELi2ENSG_IJLi1ELi8ELi1ELi8EEEELi4ELNS_13LoopSchedulerE0ELNS_15PipelineVersionE2EfEEffNS6_IJPKfSO_EEEfSB_SB_SC_NS_16TensorDescriptorINS6_IJNS_5EmbedINS6_IJiiEEENS6_IJiNS_17integral_constantIiLi1EEEEEELb0EEENS_11PassThroughIiEESY_NS_7UnMergeINS6_IJiNST_IiLi8EEEEEELb0EEESY_EEENS6_IJNSG_IJLi0EEEENSG_IJLi1EEEENSG_IJLi2EEEENSG_IJLi4EEEENSG_IJLi3EEEEEEENS6_IJNSG_IJLi1ELi2EEEES18_S17_NSG_IJLi5ELi6EEEENSG_IJLi7EEEEEEENSG_IJLi5ELi7ELi6EEEElEES1F_NS6_IJNSQ_INS6_IJSW_SY_SY_NSZ_INS6_IJiNST_IiLi64EEEEEELb0EEES1I_EEENS6_IJS14_S15_S16_S18_S17_EEENS6_IJS1A_S18_S17_S1B_NSG_IJLi7ELi8EEEEEEENSG_IJLi5ELi6ELi7ELi8EEEElEES1O_EEES1O_NS_31BlockToCTileMap_M00_N0_M01AdaptILi64ELi64ENSQ_INS6_IJSW_SY_SY_EEENS6_IJS14_S15_S16_EEENS6_IJS1A_S18_S17_EEENSG_IJLi3ELi4EEEElEEiEELb1ELi2EEEvPKT0_PKT1_T2_PT3_T4_T5_T6_T7_T8_T9_T10_T11_.has_indirect_call, 0
	.section	.AMDGPU.csdata,"",@progbits
; Kernel info:
; codeLenInByte = 4
; TotalNumSgprs: 6
; NumVgprs: 0
; NumAgprs: 0
; TotalNumVgprs: 0
; ScratchSize: 0
; MemoryBound: 0
; FloatMode: 240
; IeeeMode: 1
; LDSByteSize: 0 bytes/workgroup (compile time only)
; SGPRBlocks: 0
; VGPRBlocks: 0
; NumSGPRsForWavesPerEU: 6
; NumVGPRsForWavesPerEU: 1
; AccumOffset: 4
; Occupancy: 8
; WaveLimiterHint : 0
; COMPUTE_PGM_RSRC2:SCRATCH_EN: 0
; COMPUTE_PGM_RSRC2:USER_SGPR: 2
; COMPUTE_PGM_RSRC2:TRAP_HANDLER: 0
; COMPUTE_PGM_RSRC2:TGID_X_EN: 1
; COMPUTE_PGM_RSRC2:TGID_Y_EN: 0
; COMPUTE_PGM_RSRC2:TGID_Z_EN: 0
; COMPUTE_PGM_RSRC2:TIDIG_COMP_CNT: 0
; COMPUTE_PGM_RSRC3_GFX90A:ACCUM_OFFSET: 0
; COMPUTE_PGM_RSRC3_GFX90A:TG_SPLIT: 0
	.section	.text._ZN2ck51kernel_gemm_multiple_d_xdl_cshuffle_lds_direct_loadINS_48GridwiseGemmMultipleD_Xdl_CShuffle_LdsDirectLoadINS_13tensor_layout4gemm8RowMajorENS3_11ColumnMajorENS_5TupleIJS4_S4_EEES4_fffffNS6_IJffEEEfNS_16tensor_operation12element_wise11PassThroughESB_NSA_14AddAddFastGeluELNS_25InMemoryDataOperationEnumE0ELNS9_6device18GemmSpecializationE0ELi1ELi64ELi64ELi64ELi64ELi8ELi8ELi16ELi16ELi4ELi2ENS_8SequenceIJLi8ELi1ELi8EEEENSG_IJLi1ELi0ELi2EEEELi2ELi1ELi0ESH_SI_Li2ELi1ELi0ELi2ELi2ENSG_IJLi1ELi8ELi1ELi8EEEELi4ELNS_13LoopSchedulerE0ELNS_15PipelineVersionE2EfEEffNS6_IJPKfSO_EEEfSB_SB_SC_NS_16TensorDescriptorINS6_IJNS_5EmbedINS6_IJiiEEENS6_IJiNS_17integral_constantIiLi1EEEEEELb0EEENS_11PassThroughIiEESY_NS_7UnMergeINS6_IJiNST_IiLi8EEEEEELb0EEESY_EEENS6_IJNSG_IJLi0EEEENSG_IJLi1EEEENSG_IJLi2EEEENSG_IJLi4EEEENSG_IJLi3EEEEEEENS6_IJNSG_IJLi1ELi2EEEES18_S17_NSG_IJLi5ELi6EEEENSG_IJLi7EEEEEEENSG_IJLi5ELi7ELi6EEEElEES1F_NS6_IJNSQ_INS6_IJSW_SY_SY_NSZ_INS6_IJiNST_IiLi64EEEEEELb0EEES1I_EEENS6_IJS14_S15_S16_S18_S17_EEENS6_IJS1A_S18_S17_S1B_NSG_IJLi7ELi8EEEEEEENSG_IJLi5ELi6ELi7ELi8EEEElEES1O_EEES1O_NS_31BlockToCTileMap_M00_N0_M01AdaptILi64ELi64ENSQ_INS6_IJSW_SY_SY_EEENS6_IJS14_S15_S16_EEENS6_IJS1A_S18_S17_EEENSG_IJLi3ELi4EEEElEEiEELb0ELi2EEEvPKT0_PKT1_T2_PT3_T4_T5_T6_T7_T8_T9_T10_T11_,"axG",@progbits,_ZN2ck51kernel_gemm_multiple_d_xdl_cshuffle_lds_direct_loadINS_48GridwiseGemmMultipleD_Xdl_CShuffle_LdsDirectLoadINS_13tensor_layout4gemm8RowMajorENS3_11ColumnMajorENS_5TupleIJS4_S4_EEES4_fffffNS6_IJffEEEfNS_16tensor_operation12element_wise11PassThroughESB_NSA_14AddAddFastGeluELNS_25InMemoryDataOperationEnumE0ELNS9_6device18GemmSpecializationE0ELi1ELi64ELi64ELi64ELi64ELi8ELi8ELi16ELi16ELi4ELi2ENS_8SequenceIJLi8ELi1ELi8EEEENSG_IJLi1ELi0ELi2EEEELi2ELi1ELi0ESH_SI_Li2ELi1ELi0ELi2ELi2ENSG_IJLi1ELi8ELi1ELi8EEEELi4ELNS_13LoopSchedulerE0ELNS_15PipelineVersionE2EfEEffNS6_IJPKfSO_EEEfSB_SB_SC_NS_16TensorDescriptorINS6_IJNS_5EmbedINS6_IJiiEEENS6_IJiNS_17integral_constantIiLi1EEEEEELb0EEENS_11PassThroughIiEESY_NS_7UnMergeINS6_IJiNST_IiLi8EEEEEELb0EEESY_EEENS6_IJNSG_IJLi0EEEENSG_IJLi1EEEENSG_IJLi2EEEENSG_IJLi4EEEENSG_IJLi3EEEEEEENS6_IJNSG_IJLi1ELi2EEEES18_S17_NSG_IJLi5ELi6EEEENSG_IJLi7EEEEEEENSG_IJLi5ELi7ELi6EEEElEES1F_NS6_IJNSQ_INS6_IJSW_SY_SY_NSZ_INS6_IJiNST_IiLi64EEEEEELb0EEES1I_EEENS6_IJS14_S15_S16_S18_S17_EEENS6_IJS1A_S18_S17_S1B_NSG_IJLi7ELi8EEEEEEENSG_IJLi5ELi6ELi7ELi8EEEElEES1O_EEES1O_NS_31BlockToCTileMap_M00_N0_M01AdaptILi64ELi64ENSQ_INS6_IJSW_SY_SY_EEENS6_IJS14_S15_S16_EEENS6_IJS1A_S18_S17_EEENSG_IJLi3ELi4EEEElEEiEELb0ELi2EEEvPKT0_PKT1_T2_PT3_T4_T5_T6_T7_T8_T9_T10_T11_,comdat
	.protected	_ZN2ck51kernel_gemm_multiple_d_xdl_cshuffle_lds_direct_loadINS_48GridwiseGemmMultipleD_Xdl_CShuffle_LdsDirectLoadINS_13tensor_layout4gemm8RowMajorENS3_11ColumnMajorENS_5TupleIJS4_S4_EEES4_fffffNS6_IJffEEEfNS_16tensor_operation12element_wise11PassThroughESB_NSA_14AddAddFastGeluELNS_25InMemoryDataOperationEnumE0ELNS9_6device18GemmSpecializationE0ELi1ELi64ELi64ELi64ELi64ELi8ELi8ELi16ELi16ELi4ELi2ENS_8SequenceIJLi8ELi1ELi8EEEENSG_IJLi1ELi0ELi2EEEELi2ELi1ELi0ESH_SI_Li2ELi1ELi0ELi2ELi2ENSG_IJLi1ELi8ELi1ELi8EEEELi4ELNS_13LoopSchedulerE0ELNS_15PipelineVersionE2EfEEffNS6_IJPKfSO_EEEfSB_SB_SC_NS_16TensorDescriptorINS6_IJNS_5EmbedINS6_IJiiEEENS6_IJiNS_17integral_constantIiLi1EEEEEELb0EEENS_11PassThroughIiEESY_NS_7UnMergeINS6_IJiNST_IiLi8EEEEEELb0EEESY_EEENS6_IJNSG_IJLi0EEEENSG_IJLi1EEEENSG_IJLi2EEEENSG_IJLi4EEEENSG_IJLi3EEEEEEENS6_IJNSG_IJLi1ELi2EEEES18_S17_NSG_IJLi5ELi6EEEENSG_IJLi7EEEEEEENSG_IJLi5ELi7ELi6EEEElEES1F_NS6_IJNSQ_INS6_IJSW_SY_SY_NSZ_INS6_IJiNST_IiLi64EEEEEELb0EEES1I_EEENS6_IJS14_S15_S16_S18_S17_EEENS6_IJS1A_S18_S17_S1B_NSG_IJLi7ELi8EEEEEEENSG_IJLi5ELi6ELi7ELi8EEEElEES1O_EEES1O_NS_31BlockToCTileMap_M00_N0_M01AdaptILi64ELi64ENSQ_INS6_IJSW_SY_SY_EEENS6_IJS14_S15_S16_EEENS6_IJS1A_S18_S17_EEENSG_IJLi3ELi4EEEElEEiEELb0ELi2EEEvPKT0_PKT1_T2_PT3_T4_T5_T6_T7_T8_T9_T10_T11_ ; -- Begin function _ZN2ck51kernel_gemm_multiple_d_xdl_cshuffle_lds_direct_loadINS_48GridwiseGemmMultipleD_Xdl_CShuffle_LdsDirectLoadINS_13tensor_layout4gemm8RowMajorENS3_11ColumnMajorENS_5TupleIJS4_S4_EEES4_fffffNS6_IJffEEEfNS_16tensor_operation12element_wise11PassThroughESB_NSA_14AddAddFastGeluELNS_25InMemoryDataOperationEnumE0ELNS9_6device18GemmSpecializationE0ELi1ELi64ELi64ELi64ELi64ELi8ELi8ELi16ELi16ELi4ELi2ENS_8SequenceIJLi8ELi1ELi8EEEENSG_IJLi1ELi0ELi2EEEELi2ELi1ELi0ESH_SI_Li2ELi1ELi0ELi2ELi2ENSG_IJLi1ELi8ELi1ELi8EEEELi4ELNS_13LoopSchedulerE0ELNS_15PipelineVersionE2EfEEffNS6_IJPKfSO_EEEfSB_SB_SC_NS_16TensorDescriptorINS6_IJNS_5EmbedINS6_IJiiEEENS6_IJiNS_17integral_constantIiLi1EEEEEELb0EEENS_11PassThroughIiEESY_NS_7UnMergeINS6_IJiNST_IiLi8EEEEEELb0EEESY_EEENS6_IJNSG_IJLi0EEEENSG_IJLi1EEEENSG_IJLi2EEEENSG_IJLi4EEEENSG_IJLi3EEEEEEENS6_IJNSG_IJLi1ELi2EEEES18_S17_NSG_IJLi5ELi6EEEENSG_IJLi7EEEEEEENSG_IJLi5ELi7ELi6EEEElEES1F_NS6_IJNSQ_INS6_IJSW_SY_SY_NSZ_INS6_IJiNST_IiLi64EEEEEELb0EEES1I_EEENS6_IJS14_S15_S16_S18_S17_EEENS6_IJS1A_S18_S17_S1B_NSG_IJLi7ELi8EEEEEEENSG_IJLi5ELi6ELi7ELi8EEEElEES1O_EEES1O_NS_31BlockToCTileMap_M00_N0_M01AdaptILi64ELi64ENSQ_INS6_IJSW_SY_SY_EEENS6_IJS14_S15_S16_EEENS6_IJS1A_S18_S17_EEENSG_IJLi3ELi4EEEElEEiEELb0ELi2EEEvPKT0_PKT1_T2_PT3_T4_T5_T6_T7_T8_T9_T10_T11_
	.globl	_ZN2ck51kernel_gemm_multiple_d_xdl_cshuffle_lds_direct_loadINS_48GridwiseGemmMultipleD_Xdl_CShuffle_LdsDirectLoadINS_13tensor_layout4gemm8RowMajorENS3_11ColumnMajorENS_5TupleIJS4_S4_EEES4_fffffNS6_IJffEEEfNS_16tensor_operation12element_wise11PassThroughESB_NSA_14AddAddFastGeluELNS_25InMemoryDataOperationEnumE0ELNS9_6device18GemmSpecializationE0ELi1ELi64ELi64ELi64ELi64ELi8ELi8ELi16ELi16ELi4ELi2ENS_8SequenceIJLi8ELi1ELi8EEEENSG_IJLi1ELi0ELi2EEEELi2ELi1ELi0ESH_SI_Li2ELi1ELi0ELi2ELi2ENSG_IJLi1ELi8ELi1ELi8EEEELi4ELNS_13LoopSchedulerE0ELNS_15PipelineVersionE2EfEEffNS6_IJPKfSO_EEEfSB_SB_SC_NS_16TensorDescriptorINS6_IJNS_5EmbedINS6_IJiiEEENS6_IJiNS_17integral_constantIiLi1EEEEEELb0EEENS_11PassThroughIiEESY_NS_7UnMergeINS6_IJiNST_IiLi8EEEEEELb0EEESY_EEENS6_IJNSG_IJLi0EEEENSG_IJLi1EEEENSG_IJLi2EEEENSG_IJLi4EEEENSG_IJLi3EEEEEEENS6_IJNSG_IJLi1ELi2EEEES18_S17_NSG_IJLi5ELi6EEEENSG_IJLi7EEEEEEENSG_IJLi5ELi7ELi6EEEElEES1F_NS6_IJNSQ_INS6_IJSW_SY_SY_NSZ_INS6_IJiNST_IiLi64EEEEEELb0EEES1I_EEENS6_IJS14_S15_S16_S18_S17_EEENS6_IJS1A_S18_S17_S1B_NSG_IJLi7ELi8EEEEEEENSG_IJLi5ELi6ELi7ELi8EEEElEES1O_EEES1O_NS_31BlockToCTileMap_M00_N0_M01AdaptILi64ELi64ENSQ_INS6_IJSW_SY_SY_EEENS6_IJS14_S15_S16_EEENS6_IJS1A_S18_S17_EEENSG_IJLi3ELi4EEEElEEiEELb0ELi2EEEvPKT0_PKT1_T2_PT3_T4_T5_T6_T7_T8_T9_T10_T11_
	.p2align	8
	.type	_ZN2ck51kernel_gemm_multiple_d_xdl_cshuffle_lds_direct_loadINS_48GridwiseGemmMultipleD_Xdl_CShuffle_LdsDirectLoadINS_13tensor_layout4gemm8RowMajorENS3_11ColumnMajorENS_5TupleIJS4_S4_EEES4_fffffNS6_IJffEEEfNS_16tensor_operation12element_wise11PassThroughESB_NSA_14AddAddFastGeluELNS_25InMemoryDataOperationEnumE0ELNS9_6device18GemmSpecializationE0ELi1ELi64ELi64ELi64ELi64ELi8ELi8ELi16ELi16ELi4ELi2ENS_8SequenceIJLi8ELi1ELi8EEEENSG_IJLi1ELi0ELi2EEEELi2ELi1ELi0ESH_SI_Li2ELi1ELi0ELi2ELi2ENSG_IJLi1ELi8ELi1ELi8EEEELi4ELNS_13LoopSchedulerE0ELNS_15PipelineVersionE2EfEEffNS6_IJPKfSO_EEEfSB_SB_SC_NS_16TensorDescriptorINS6_IJNS_5EmbedINS6_IJiiEEENS6_IJiNS_17integral_constantIiLi1EEEEEELb0EEENS_11PassThroughIiEESY_NS_7UnMergeINS6_IJiNST_IiLi8EEEEEELb0EEESY_EEENS6_IJNSG_IJLi0EEEENSG_IJLi1EEEENSG_IJLi2EEEENSG_IJLi4EEEENSG_IJLi3EEEEEEENS6_IJNSG_IJLi1ELi2EEEES18_S17_NSG_IJLi5ELi6EEEENSG_IJLi7EEEEEEENSG_IJLi5ELi7ELi6EEEElEES1F_NS6_IJNSQ_INS6_IJSW_SY_SY_NSZ_INS6_IJiNST_IiLi64EEEEEELb0EEES1I_EEENS6_IJS14_S15_S16_S18_S17_EEENS6_IJS1A_S18_S17_S1B_NSG_IJLi7ELi8EEEEEEENSG_IJLi5ELi6ELi7ELi8EEEElEES1O_EEES1O_NS_31BlockToCTileMap_M00_N0_M01AdaptILi64ELi64ENSQ_INS6_IJSW_SY_SY_EEENS6_IJS14_S15_S16_EEENS6_IJS1A_S18_S17_EEENSG_IJLi3ELi4EEEElEEiEELb0ELi2EEEvPKT0_PKT1_T2_PT3_T4_T5_T6_T7_T8_T9_T10_T11_,@function
_ZN2ck51kernel_gemm_multiple_d_xdl_cshuffle_lds_direct_loadINS_48GridwiseGemmMultipleD_Xdl_CShuffle_LdsDirectLoadINS_13tensor_layout4gemm8RowMajorENS3_11ColumnMajorENS_5TupleIJS4_S4_EEES4_fffffNS6_IJffEEEfNS_16tensor_operation12element_wise11PassThroughESB_NSA_14AddAddFastGeluELNS_25InMemoryDataOperationEnumE0ELNS9_6device18GemmSpecializationE0ELi1ELi64ELi64ELi64ELi64ELi8ELi8ELi16ELi16ELi4ELi2ENS_8SequenceIJLi8ELi1ELi8EEEENSG_IJLi1ELi0ELi2EEEELi2ELi1ELi0ESH_SI_Li2ELi1ELi0ELi2ELi2ENSG_IJLi1ELi8ELi1ELi8EEEELi4ELNS_13LoopSchedulerE0ELNS_15PipelineVersionE2EfEEffNS6_IJPKfSO_EEEfSB_SB_SC_NS_16TensorDescriptorINS6_IJNS_5EmbedINS6_IJiiEEENS6_IJiNS_17integral_constantIiLi1EEEEEELb0EEENS_11PassThroughIiEESY_NS_7UnMergeINS6_IJiNST_IiLi8EEEEEELb0EEESY_EEENS6_IJNSG_IJLi0EEEENSG_IJLi1EEEENSG_IJLi2EEEENSG_IJLi4EEEENSG_IJLi3EEEEEEENS6_IJNSG_IJLi1ELi2EEEES18_S17_NSG_IJLi5ELi6EEEENSG_IJLi7EEEEEEENSG_IJLi5ELi7ELi6EEEElEES1F_NS6_IJNSQ_INS6_IJSW_SY_SY_NSZ_INS6_IJiNST_IiLi64EEEEEELb0EEES1I_EEENS6_IJS14_S15_S16_S18_S17_EEENS6_IJS1A_S18_S17_S1B_NSG_IJLi7ELi8EEEEEEENSG_IJLi5ELi6ELi7ELi8EEEElEES1O_EEES1O_NS_31BlockToCTileMap_M00_N0_M01AdaptILi64ELi64ENSQ_INS6_IJSW_SY_SY_EEENS6_IJS14_S15_S16_EEENS6_IJS1A_S18_S17_EEENSG_IJLi3ELi4EEEElEEiEELb0ELi2EEEvPKT0_PKT1_T2_PT3_T4_T5_T6_T7_T8_T9_T10_T11_: ; @_ZN2ck51kernel_gemm_multiple_d_xdl_cshuffle_lds_direct_loadINS_48GridwiseGemmMultipleD_Xdl_CShuffle_LdsDirectLoadINS_13tensor_layout4gemm8RowMajorENS3_11ColumnMajorENS_5TupleIJS4_S4_EEES4_fffffNS6_IJffEEEfNS_16tensor_operation12element_wise11PassThroughESB_NSA_14AddAddFastGeluELNS_25InMemoryDataOperationEnumE0ELNS9_6device18GemmSpecializationE0ELi1ELi64ELi64ELi64ELi64ELi8ELi8ELi16ELi16ELi4ELi2ENS_8SequenceIJLi8ELi1ELi8EEEENSG_IJLi1ELi0ELi2EEEELi2ELi1ELi0ESH_SI_Li2ELi1ELi0ELi2ELi2ENSG_IJLi1ELi8ELi1ELi8EEEELi4ELNS_13LoopSchedulerE0ELNS_15PipelineVersionE2EfEEffNS6_IJPKfSO_EEEfSB_SB_SC_NS_16TensorDescriptorINS6_IJNS_5EmbedINS6_IJiiEEENS6_IJiNS_17integral_constantIiLi1EEEEEELb0EEENS_11PassThroughIiEESY_NS_7UnMergeINS6_IJiNST_IiLi8EEEEEELb0EEESY_EEENS6_IJNSG_IJLi0EEEENSG_IJLi1EEEENSG_IJLi2EEEENSG_IJLi4EEEENSG_IJLi3EEEEEEENS6_IJNSG_IJLi1ELi2EEEES18_S17_NSG_IJLi5ELi6EEEENSG_IJLi7EEEEEEENSG_IJLi5ELi7ELi6EEEElEES1F_NS6_IJNSQ_INS6_IJSW_SY_SY_NSZ_INS6_IJiNST_IiLi64EEEEEELb0EEES1I_EEENS6_IJS14_S15_S16_S18_S17_EEENS6_IJS1A_S18_S17_S1B_NSG_IJLi7ELi8EEEEEEENSG_IJLi5ELi6ELi7ELi8EEEElEES1O_EEES1O_NS_31BlockToCTileMap_M00_N0_M01AdaptILi64ELi64ENSQ_INS6_IJSW_SY_SY_EEENS6_IJS14_S15_S16_EEENS6_IJS1A_S18_S17_EEENSG_IJLi3ELi4EEEElEEiEELb0ELi2EEEvPKT0_PKT1_T2_PT3_T4_T5_T6_T7_T8_T9_T10_T11_
; %bb.0:
	s_endpgm
	.section	.rodata,"a",@progbits
	.p2align	6, 0x0
	.amdhsa_kernel _ZN2ck51kernel_gemm_multiple_d_xdl_cshuffle_lds_direct_loadINS_48GridwiseGemmMultipleD_Xdl_CShuffle_LdsDirectLoadINS_13tensor_layout4gemm8RowMajorENS3_11ColumnMajorENS_5TupleIJS4_S4_EEES4_fffffNS6_IJffEEEfNS_16tensor_operation12element_wise11PassThroughESB_NSA_14AddAddFastGeluELNS_25InMemoryDataOperationEnumE0ELNS9_6device18GemmSpecializationE0ELi1ELi64ELi64ELi64ELi64ELi8ELi8ELi16ELi16ELi4ELi2ENS_8SequenceIJLi8ELi1ELi8EEEENSG_IJLi1ELi0ELi2EEEELi2ELi1ELi0ESH_SI_Li2ELi1ELi0ELi2ELi2ENSG_IJLi1ELi8ELi1ELi8EEEELi4ELNS_13LoopSchedulerE0ELNS_15PipelineVersionE2EfEEffNS6_IJPKfSO_EEEfSB_SB_SC_NS_16TensorDescriptorINS6_IJNS_5EmbedINS6_IJiiEEENS6_IJiNS_17integral_constantIiLi1EEEEEELb0EEENS_11PassThroughIiEESY_NS_7UnMergeINS6_IJiNST_IiLi8EEEEEELb0EEESY_EEENS6_IJNSG_IJLi0EEEENSG_IJLi1EEEENSG_IJLi2EEEENSG_IJLi4EEEENSG_IJLi3EEEEEEENS6_IJNSG_IJLi1ELi2EEEES18_S17_NSG_IJLi5ELi6EEEENSG_IJLi7EEEEEEENSG_IJLi5ELi7ELi6EEEElEES1F_NS6_IJNSQ_INS6_IJSW_SY_SY_NSZ_INS6_IJiNST_IiLi64EEEEEELb0EEES1I_EEENS6_IJS14_S15_S16_S18_S17_EEENS6_IJS1A_S18_S17_S1B_NSG_IJLi7ELi8EEEEEEENSG_IJLi5ELi6ELi7ELi8EEEElEES1O_EEES1O_NS_31BlockToCTileMap_M00_N0_M01AdaptILi64ELi64ENSQ_INS6_IJSW_SY_SY_EEENS6_IJS14_S15_S16_EEENS6_IJS1A_S18_S17_EEENSG_IJLi3ELi4EEEElEEiEELb0ELi2EEEvPKT0_PKT1_T2_PT3_T4_T5_T6_T7_T8_T9_T10_T11_
		.amdhsa_group_segment_fixed_size 0
		.amdhsa_private_segment_fixed_size 0
		.amdhsa_kernarg_size 364
		.amdhsa_user_sgpr_count 2
		.amdhsa_user_sgpr_dispatch_ptr 0
		.amdhsa_user_sgpr_queue_ptr 0
		.amdhsa_user_sgpr_kernarg_segment_ptr 1
		.amdhsa_user_sgpr_dispatch_id 0
		.amdhsa_user_sgpr_kernarg_preload_length 0
		.amdhsa_user_sgpr_kernarg_preload_offset 0
		.amdhsa_user_sgpr_private_segment_size 0
		.amdhsa_uses_dynamic_stack 0
		.amdhsa_enable_private_segment 0
		.amdhsa_system_sgpr_workgroup_id_x 1
		.amdhsa_system_sgpr_workgroup_id_y 0
		.amdhsa_system_sgpr_workgroup_id_z 0
		.amdhsa_system_sgpr_workgroup_info 0
		.amdhsa_system_vgpr_workitem_id 0
		.amdhsa_next_free_vgpr 1
		.amdhsa_next_free_sgpr 0
		.amdhsa_accum_offset 4
		.amdhsa_reserve_vcc 0
		.amdhsa_float_round_mode_32 0
		.amdhsa_float_round_mode_16_64 0
		.amdhsa_float_denorm_mode_32 3
		.amdhsa_float_denorm_mode_16_64 3
		.amdhsa_dx10_clamp 1
		.amdhsa_ieee_mode 1
		.amdhsa_fp16_overflow 0
		.amdhsa_tg_split 0
		.amdhsa_exception_fp_ieee_invalid_op 0
		.amdhsa_exception_fp_denorm_src 0
		.amdhsa_exception_fp_ieee_div_zero 0
		.amdhsa_exception_fp_ieee_overflow 0
		.amdhsa_exception_fp_ieee_underflow 0
		.amdhsa_exception_fp_ieee_inexact 0
		.amdhsa_exception_int_div_zero 0
	.end_amdhsa_kernel
	.section	.text._ZN2ck51kernel_gemm_multiple_d_xdl_cshuffle_lds_direct_loadINS_48GridwiseGemmMultipleD_Xdl_CShuffle_LdsDirectLoadINS_13tensor_layout4gemm8RowMajorENS3_11ColumnMajorENS_5TupleIJS4_S4_EEES4_fffffNS6_IJffEEEfNS_16tensor_operation12element_wise11PassThroughESB_NSA_14AddAddFastGeluELNS_25InMemoryDataOperationEnumE0ELNS9_6device18GemmSpecializationE0ELi1ELi64ELi64ELi64ELi64ELi8ELi8ELi16ELi16ELi4ELi2ENS_8SequenceIJLi8ELi1ELi8EEEENSG_IJLi1ELi0ELi2EEEELi2ELi1ELi0ESH_SI_Li2ELi1ELi0ELi2ELi2ENSG_IJLi1ELi8ELi1ELi8EEEELi4ELNS_13LoopSchedulerE0ELNS_15PipelineVersionE2EfEEffNS6_IJPKfSO_EEEfSB_SB_SC_NS_16TensorDescriptorINS6_IJNS_5EmbedINS6_IJiiEEENS6_IJiNS_17integral_constantIiLi1EEEEEELb0EEENS_11PassThroughIiEESY_NS_7UnMergeINS6_IJiNST_IiLi8EEEEEELb0EEESY_EEENS6_IJNSG_IJLi0EEEENSG_IJLi1EEEENSG_IJLi2EEEENSG_IJLi4EEEENSG_IJLi3EEEEEEENS6_IJNSG_IJLi1ELi2EEEES18_S17_NSG_IJLi5ELi6EEEENSG_IJLi7EEEEEEENSG_IJLi5ELi7ELi6EEEElEES1F_NS6_IJNSQ_INS6_IJSW_SY_SY_NSZ_INS6_IJiNST_IiLi64EEEEEELb0EEES1I_EEENS6_IJS14_S15_S16_S18_S17_EEENS6_IJS1A_S18_S17_S1B_NSG_IJLi7ELi8EEEEEEENSG_IJLi5ELi6ELi7ELi8EEEElEES1O_EEES1O_NS_31BlockToCTileMap_M00_N0_M01AdaptILi64ELi64ENSQ_INS6_IJSW_SY_SY_EEENS6_IJS14_S15_S16_EEENS6_IJS1A_S18_S17_EEENSG_IJLi3ELi4EEEElEEiEELb0ELi2EEEvPKT0_PKT1_T2_PT3_T4_T5_T6_T7_T8_T9_T10_T11_,"axG",@progbits,_ZN2ck51kernel_gemm_multiple_d_xdl_cshuffle_lds_direct_loadINS_48GridwiseGemmMultipleD_Xdl_CShuffle_LdsDirectLoadINS_13tensor_layout4gemm8RowMajorENS3_11ColumnMajorENS_5TupleIJS4_S4_EEES4_fffffNS6_IJffEEEfNS_16tensor_operation12element_wise11PassThroughESB_NSA_14AddAddFastGeluELNS_25InMemoryDataOperationEnumE0ELNS9_6device18GemmSpecializationE0ELi1ELi64ELi64ELi64ELi64ELi8ELi8ELi16ELi16ELi4ELi2ENS_8SequenceIJLi8ELi1ELi8EEEENSG_IJLi1ELi0ELi2EEEELi2ELi1ELi0ESH_SI_Li2ELi1ELi0ELi2ELi2ENSG_IJLi1ELi8ELi1ELi8EEEELi4ELNS_13LoopSchedulerE0ELNS_15PipelineVersionE2EfEEffNS6_IJPKfSO_EEEfSB_SB_SC_NS_16TensorDescriptorINS6_IJNS_5EmbedINS6_IJiiEEENS6_IJiNS_17integral_constantIiLi1EEEEEELb0EEENS_11PassThroughIiEESY_NS_7UnMergeINS6_IJiNST_IiLi8EEEEEELb0EEESY_EEENS6_IJNSG_IJLi0EEEENSG_IJLi1EEEENSG_IJLi2EEEENSG_IJLi4EEEENSG_IJLi3EEEEEEENS6_IJNSG_IJLi1ELi2EEEES18_S17_NSG_IJLi5ELi6EEEENSG_IJLi7EEEEEEENSG_IJLi5ELi7ELi6EEEElEES1F_NS6_IJNSQ_INS6_IJSW_SY_SY_NSZ_INS6_IJiNST_IiLi64EEEEEELb0EEES1I_EEENS6_IJS14_S15_S16_S18_S17_EEENS6_IJS1A_S18_S17_S1B_NSG_IJLi7ELi8EEEEEEENSG_IJLi5ELi6ELi7ELi8EEEElEES1O_EEES1O_NS_31BlockToCTileMap_M00_N0_M01AdaptILi64ELi64ENSQ_INS6_IJSW_SY_SY_EEENS6_IJS14_S15_S16_EEENS6_IJS1A_S18_S17_EEENSG_IJLi3ELi4EEEElEEiEELb0ELi2EEEvPKT0_PKT1_T2_PT3_T4_T5_T6_T7_T8_T9_T10_T11_,comdat
.Lfunc_end4:
	.size	_ZN2ck51kernel_gemm_multiple_d_xdl_cshuffle_lds_direct_loadINS_48GridwiseGemmMultipleD_Xdl_CShuffle_LdsDirectLoadINS_13tensor_layout4gemm8RowMajorENS3_11ColumnMajorENS_5TupleIJS4_S4_EEES4_fffffNS6_IJffEEEfNS_16tensor_operation12element_wise11PassThroughESB_NSA_14AddAddFastGeluELNS_25InMemoryDataOperationEnumE0ELNS9_6device18GemmSpecializationE0ELi1ELi64ELi64ELi64ELi64ELi8ELi8ELi16ELi16ELi4ELi2ENS_8SequenceIJLi8ELi1ELi8EEEENSG_IJLi1ELi0ELi2EEEELi2ELi1ELi0ESH_SI_Li2ELi1ELi0ELi2ELi2ENSG_IJLi1ELi8ELi1ELi8EEEELi4ELNS_13LoopSchedulerE0ELNS_15PipelineVersionE2EfEEffNS6_IJPKfSO_EEEfSB_SB_SC_NS_16TensorDescriptorINS6_IJNS_5EmbedINS6_IJiiEEENS6_IJiNS_17integral_constantIiLi1EEEEEELb0EEENS_11PassThroughIiEESY_NS_7UnMergeINS6_IJiNST_IiLi8EEEEEELb0EEESY_EEENS6_IJNSG_IJLi0EEEENSG_IJLi1EEEENSG_IJLi2EEEENSG_IJLi4EEEENSG_IJLi3EEEEEEENS6_IJNSG_IJLi1ELi2EEEES18_S17_NSG_IJLi5ELi6EEEENSG_IJLi7EEEEEEENSG_IJLi5ELi7ELi6EEEElEES1F_NS6_IJNSQ_INS6_IJSW_SY_SY_NSZ_INS6_IJiNST_IiLi64EEEEEELb0EEES1I_EEENS6_IJS14_S15_S16_S18_S17_EEENS6_IJS1A_S18_S17_S1B_NSG_IJLi7ELi8EEEEEEENSG_IJLi5ELi6ELi7ELi8EEEElEES1O_EEES1O_NS_31BlockToCTileMap_M00_N0_M01AdaptILi64ELi64ENSQ_INS6_IJSW_SY_SY_EEENS6_IJS14_S15_S16_EEENS6_IJS1A_S18_S17_EEENSG_IJLi3ELi4EEEElEEiEELb0ELi2EEEvPKT0_PKT1_T2_PT3_T4_T5_T6_T7_T8_T9_T10_T11_, .Lfunc_end4-_ZN2ck51kernel_gemm_multiple_d_xdl_cshuffle_lds_direct_loadINS_48GridwiseGemmMultipleD_Xdl_CShuffle_LdsDirectLoadINS_13tensor_layout4gemm8RowMajorENS3_11ColumnMajorENS_5TupleIJS4_S4_EEES4_fffffNS6_IJffEEEfNS_16tensor_operation12element_wise11PassThroughESB_NSA_14AddAddFastGeluELNS_25InMemoryDataOperationEnumE0ELNS9_6device18GemmSpecializationE0ELi1ELi64ELi64ELi64ELi64ELi8ELi8ELi16ELi16ELi4ELi2ENS_8SequenceIJLi8ELi1ELi8EEEENSG_IJLi1ELi0ELi2EEEELi2ELi1ELi0ESH_SI_Li2ELi1ELi0ELi2ELi2ENSG_IJLi1ELi8ELi1ELi8EEEELi4ELNS_13LoopSchedulerE0ELNS_15PipelineVersionE2EfEEffNS6_IJPKfSO_EEEfSB_SB_SC_NS_16TensorDescriptorINS6_IJNS_5EmbedINS6_IJiiEEENS6_IJiNS_17integral_constantIiLi1EEEEEELb0EEENS_11PassThroughIiEESY_NS_7UnMergeINS6_IJiNST_IiLi8EEEEEELb0EEESY_EEENS6_IJNSG_IJLi0EEEENSG_IJLi1EEEENSG_IJLi2EEEENSG_IJLi4EEEENSG_IJLi3EEEEEEENS6_IJNSG_IJLi1ELi2EEEES18_S17_NSG_IJLi5ELi6EEEENSG_IJLi7EEEEEEENSG_IJLi5ELi7ELi6EEEElEES1F_NS6_IJNSQ_INS6_IJSW_SY_SY_NSZ_INS6_IJiNST_IiLi64EEEEEELb0EEES1I_EEENS6_IJS14_S15_S16_S18_S17_EEENS6_IJS1A_S18_S17_S1B_NSG_IJLi7ELi8EEEEEEENSG_IJLi5ELi6ELi7ELi8EEEElEES1O_EEES1O_NS_31BlockToCTileMap_M00_N0_M01AdaptILi64ELi64ENSQ_INS6_IJSW_SY_SY_EEENS6_IJS14_S15_S16_EEENS6_IJS1A_S18_S17_EEENSG_IJLi3ELi4EEEElEEiEELb0ELi2EEEvPKT0_PKT1_T2_PT3_T4_T5_T6_T7_T8_T9_T10_T11_
                                        ; -- End function
	.set _ZN2ck51kernel_gemm_multiple_d_xdl_cshuffle_lds_direct_loadINS_48GridwiseGemmMultipleD_Xdl_CShuffle_LdsDirectLoadINS_13tensor_layout4gemm8RowMajorENS3_11ColumnMajorENS_5TupleIJS4_S4_EEES4_fffffNS6_IJffEEEfNS_16tensor_operation12element_wise11PassThroughESB_NSA_14AddAddFastGeluELNS_25InMemoryDataOperationEnumE0ELNS9_6device18GemmSpecializationE0ELi1ELi64ELi64ELi64ELi64ELi8ELi8ELi16ELi16ELi4ELi2ENS_8SequenceIJLi8ELi1ELi8EEEENSG_IJLi1ELi0ELi2EEEELi2ELi1ELi0ESH_SI_Li2ELi1ELi0ELi2ELi2ENSG_IJLi1ELi8ELi1ELi8EEEELi4ELNS_13LoopSchedulerE0ELNS_15PipelineVersionE2EfEEffNS6_IJPKfSO_EEEfSB_SB_SC_NS_16TensorDescriptorINS6_IJNS_5EmbedINS6_IJiiEEENS6_IJiNS_17integral_constantIiLi1EEEEEELb0EEENS_11PassThroughIiEESY_NS_7UnMergeINS6_IJiNST_IiLi8EEEEEELb0EEESY_EEENS6_IJNSG_IJLi0EEEENSG_IJLi1EEEENSG_IJLi2EEEENSG_IJLi4EEEENSG_IJLi3EEEEEEENS6_IJNSG_IJLi1ELi2EEEES18_S17_NSG_IJLi5ELi6EEEENSG_IJLi7EEEEEEENSG_IJLi5ELi7ELi6EEEElEES1F_NS6_IJNSQ_INS6_IJSW_SY_SY_NSZ_INS6_IJiNST_IiLi64EEEEEELb0EEES1I_EEENS6_IJS14_S15_S16_S18_S17_EEENS6_IJS1A_S18_S17_S1B_NSG_IJLi7ELi8EEEEEEENSG_IJLi5ELi6ELi7ELi8EEEElEES1O_EEES1O_NS_31BlockToCTileMap_M00_N0_M01AdaptILi64ELi64ENSQ_INS6_IJSW_SY_SY_EEENS6_IJS14_S15_S16_EEENS6_IJS1A_S18_S17_EEENSG_IJLi3ELi4EEEElEEiEELb0ELi2EEEvPKT0_PKT1_T2_PT3_T4_T5_T6_T7_T8_T9_T10_T11_.num_vgpr, 0
	.set _ZN2ck51kernel_gemm_multiple_d_xdl_cshuffle_lds_direct_loadINS_48GridwiseGemmMultipleD_Xdl_CShuffle_LdsDirectLoadINS_13tensor_layout4gemm8RowMajorENS3_11ColumnMajorENS_5TupleIJS4_S4_EEES4_fffffNS6_IJffEEEfNS_16tensor_operation12element_wise11PassThroughESB_NSA_14AddAddFastGeluELNS_25InMemoryDataOperationEnumE0ELNS9_6device18GemmSpecializationE0ELi1ELi64ELi64ELi64ELi64ELi8ELi8ELi16ELi16ELi4ELi2ENS_8SequenceIJLi8ELi1ELi8EEEENSG_IJLi1ELi0ELi2EEEELi2ELi1ELi0ESH_SI_Li2ELi1ELi0ELi2ELi2ENSG_IJLi1ELi8ELi1ELi8EEEELi4ELNS_13LoopSchedulerE0ELNS_15PipelineVersionE2EfEEffNS6_IJPKfSO_EEEfSB_SB_SC_NS_16TensorDescriptorINS6_IJNS_5EmbedINS6_IJiiEEENS6_IJiNS_17integral_constantIiLi1EEEEEELb0EEENS_11PassThroughIiEESY_NS_7UnMergeINS6_IJiNST_IiLi8EEEEEELb0EEESY_EEENS6_IJNSG_IJLi0EEEENSG_IJLi1EEEENSG_IJLi2EEEENSG_IJLi4EEEENSG_IJLi3EEEEEEENS6_IJNSG_IJLi1ELi2EEEES18_S17_NSG_IJLi5ELi6EEEENSG_IJLi7EEEEEEENSG_IJLi5ELi7ELi6EEEElEES1F_NS6_IJNSQ_INS6_IJSW_SY_SY_NSZ_INS6_IJiNST_IiLi64EEEEEELb0EEES1I_EEENS6_IJS14_S15_S16_S18_S17_EEENS6_IJS1A_S18_S17_S1B_NSG_IJLi7ELi8EEEEEEENSG_IJLi5ELi6ELi7ELi8EEEElEES1O_EEES1O_NS_31BlockToCTileMap_M00_N0_M01AdaptILi64ELi64ENSQ_INS6_IJSW_SY_SY_EEENS6_IJS14_S15_S16_EEENS6_IJS1A_S18_S17_EEENSG_IJLi3ELi4EEEElEEiEELb0ELi2EEEvPKT0_PKT1_T2_PT3_T4_T5_T6_T7_T8_T9_T10_T11_.num_agpr, 0
	.set _ZN2ck51kernel_gemm_multiple_d_xdl_cshuffle_lds_direct_loadINS_48GridwiseGemmMultipleD_Xdl_CShuffle_LdsDirectLoadINS_13tensor_layout4gemm8RowMajorENS3_11ColumnMajorENS_5TupleIJS4_S4_EEES4_fffffNS6_IJffEEEfNS_16tensor_operation12element_wise11PassThroughESB_NSA_14AddAddFastGeluELNS_25InMemoryDataOperationEnumE0ELNS9_6device18GemmSpecializationE0ELi1ELi64ELi64ELi64ELi64ELi8ELi8ELi16ELi16ELi4ELi2ENS_8SequenceIJLi8ELi1ELi8EEEENSG_IJLi1ELi0ELi2EEEELi2ELi1ELi0ESH_SI_Li2ELi1ELi0ELi2ELi2ENSG_IJLi1ELi8ELi1ELi8EEEELi4ELNS_13LoopSchedulerE0ELNS_15PipelineVersionE2EfEEffNS6_IJPKfSO_EEEfSB_SB_SC_NS_16TensorDescriptorINS6_IJNS_5EmbedINS6_IJiiEEENS6_IJiNS_17integral_constantIiLi1EEEEEELb0EEENS_11PassThroughIiEESY_NS_7UnMergeINS6_IJiNST_IiLi8EEEEEELb0EEESY_EEENS6_IJNSG_IJLi0EEEENSG_IJLi1EEEENSG_IJLi2EEEENSG_IJLi4EEEENSG_IJLi3EEEEEEENS6_IJNSG_IJLi1ELi2EEEES18_S17_NSG_IJLi5ELi6EEEENSG_IJLi7EEEEEEENSG_IJLi5ELi7ELi6EEEElEES1F_NS6_IJNSQ_INS6_IJSW_SY_SY_NSZ_INS6_IJiNST_IiLi64EEEEEELb0EEES1I_EEENS6_IJS14_S15_S16_S18_S17_EEENS6_IJS1A_S18_S17_S1B_NSG_IJLi7ELi8EEEEEEENSG_IJLi5ELi6ELi7ELi8EEEElEES1O_EEES1O_NS_31BlockToCTileMap_M00_N0_M01AdaptILi64ELi64ENSQ_INS6_IJSW_SY_SY_EEENS6_IJS14_S15_S16_EEENS6_IJS1A_S18_S17_EEENSG_IJLi3ELi4EEEElEEiEELb0ELi2EEEvPKT0_PKT1_T2_PT3_T4_T5_T6_T7_T8_T9_T10_T11_.numbered_sgpr, 0
	.set _ZN2ck51kernel_gemm_multiple_d_xdl_cshuffle_lds_direct_loadINS_48GridwiseGemmMultipleD_Xdl_CShuffle_LdsDirectLoadINS_13tensor_layout4gemm8RowMajorENS3_11ColumnMajorENS_5TupleIJS4_S4_EEES4_fffffNS6_IJffEEEfNS_16tensor_operation12element_wise11PassThroughESB_NSA_14AddAddFastGeluELNS_25InMemoryDataOperationEnumE0ELNS9_6device18GemmSpecializationE0ELi1ELi64ELi64ELi64ELi64ELi8ELi8ELi16ELi16ELi4ELi2ENS_8SequenceIJLi8ELi1ELi8EEEENSG_IJLi1ELi0ELi2EEEELi2ELi1ELi0ESH_SI_Li2ELi1ELi0ELi2ELi2ENSG_IJLi1ELi8ELi1ELi8EEEELi4ELNS_13LoopSchedulerE0ELNS_15PipelineVersionE2EfEEffNS6_IJPKfSO_EEEfSB_SB_SC_NS_16TensorDescriptorINS6_IJNS_5EmbedINS6_IJiiEEENS6_IJiNS_17integral_constantIiLi1EEEEEELb0EEENS_11PassThroughIiEESY_NS_7UnMergeINS6_IJiNST_IiLi8EEEEEELb0EEESY_EEENS6_IJNSG_IJLi0EEEENSG_IJLi1EEEENSG_IJLi2EEEENSG_IJLi4EEEENSG_IJLi3EEEEEEENS6_IJNSG_IJLi1ELi2EEEES18_S17_NSG_IJLi5ELi6EEEENSG_IJLi7EEEEEEENSG_IJLi5ELi7ELi6EEEElEES1F_NS6_IJNSQ_INS6_IJSW_SY_SY_NSZ_INS6_IJiNST_IiLi64EEEEEELb0EEES1I_EEENS6_IJS14_S15_S16_S18_S17_EEENS6_IJS1A_S18_S17_S1B_NSG_IJLi7ELi8EEEEEEENSG_IJLi5ELi6ELi7ELi8EEEElEES1O_EEES1O_NS_31BlockToCTileMap_M00_N0_M01AdaptILi64ELi64ENSQ_INS6_IJSW_SY_SY_EEENS6_IJS14_S15_S16_EEENS6_IJS1A_S18_S17_EEENSG_IJLi3ELi4EEEElEEiEELb0ELi2EEEvPKT0_PKT1_T2_PT3_T4_T5_T6_T7_T8_T9_T10_T11_.num_named_barrier, 0
	.set _ZN2ck51kernel_gemm_multiple_d_xdl_cshuffle_lds_direct_loadINS_48GridwiseGemmMultipleD_Xdl_CShuffle_LdsDirectLoadINS_13tensor_layout4gemm8RowMajorENS3_11ColumnMajorENS_5TupleIJS4_S4_EEES4_fffffNS6_IJffEEEfNS_16tensor_operation12element_wise11PassThroughESB_NSA_14AddAddFastGeluELNS_25InMemoryDataOperationEnumE0ELNS9_6device18GemmSpecializationE0ELi1ELi64ELi64ELi64ELi64ELi8ELi8ELi16ELi16ELi4ELi2ENS_8SequenceIJLi8ELi1ELi8EEEENSG_IJLi1ELi0ELi2EEEELi2ELi1ELi0ESH_SI_Li2ELi1ELi0ELi2ELi2ENSG_IJLi1ELi8ELi1ELi8EEEELi4ELNS_13LoopSchedulerE0ELNS_15PipelineVersionE2EfEEffNS6_IJPKfSO_EEEfSB_SB_SC_NS_16TensorDescriptorINS6_IJNS_5EmbedINS6_IJiiEEENS6_IJiNS_17integral_constantIiLi1EEEEEELb0EEENS_11PassThroughIiEESY_NS_7UnMergeINS6_IJiNST_IiLi8EEEEEELb0EEESY_EEENS6_IJNSG_IJLi0EEEENSG_IJLi1EEEENSG_IJLi2EEEENSG_IJLi4EEEENSG_IJLi3EEEEEEENS6_IJNSG_IJLi1ELi2EEEES18_S17_NSG_IJLi5ELi6EEEENSG_IJLi7EEEEEEENSG_IJLi5ELi7ELi6EEEElEES1F_NS6_IJNSQ_INS6_IJSW_SY_SY_NSZ_INS6_IJiNST_IiLi64EEEEEELb0EEES1I_EEENS6_IJS14_S15_S16_S18_S17_EEENS6_IJS1A_S18_S17_S1B_NSG_IJLi7ELi8EEEEEEENSG_IJLi5ELi6ELi7ELi8EEEElEES1O_EEES1O_NS_31BlockToCTileMap_M00_N0_M01AdaptILi64ELi64ENSQ_INS6_IJSW_SY_SY_EEENS6_IJS14_S15_S16_EEENS6_IJS1A_S18_S17_EEENSG_IJLi3ELi4EEEElEEiEELb0ELi2EEEvPKT0_PKT1_T2_PT3_T4_T5_T6_T7_T8_T9_T10_T11_.private_seg_size, 0
	.set _ZN2ck51kernel_gemm_multiple_d_xdl_cshuffle_lds_direct_loadINS_48GridwiseGemmMultipleD_Xdl_CShuffle_LdsDirectLoadINS_13tensor_layout4gemm8RowMajorENS3_11ColumnMajorENS_5TupleIJS4_S4_EEES4_fffffNS6_IJffEEEfNS_16tensor_operation12element_wise11PassThroughESB_NSA_14AddAddFastGeluELNS_25InMemoryDataOperationEnumE0ELNS9_6device18GemmSpecializationE0ELi1ELi64ELi64ELi64ELi64ELi8ELi8ELi16ELi16ELi4ELi2ENS_8SequenceIJLi8ELi1ELi8EEEENSG_IJLi1ELi0ELi2EEEELi2ELi1ELi0ESH_SI_Li2ELi1ELi0ELi2ELi2ENSG_IJLi1ELi8ELi1ELi8EEEELi4ELNS_13LoopSchedulerE0ELNS_15PipelineVersionE2EfEEffNS6_IJPKfSO_EEEfSB_SB_SC_NS_16TensorDescriptorINS6_IJNS_5EmbedINS6_IJiiEEENS6_IJiNS_17integral_constantIiLi1EEEEEELb0EEENS_11PassThroughIiEESY_NS_7UnMergeINS6_IJiNST_IiLi8EEEEEELb0EEESY_EEENS6_IJNSG_IJLi0EEEENSG_IJLi1EEEENSG_IJLi2EEEENSG_IJLi4EEEENSG_IJLi3EEEEEEENS6_IJNSG_IJLi1ELi2EEEES18_S17_NSG_IJLi5ELi6EEEENSG_IJLi7EEEEEEENSG_IJLi5ELi7ELi6EEEElEES1F_NS6_IJNSQ_INS6_IJSW_SY_SY_NSZ_INS6_IJiNST_IiLi64EEEEEELb0EEES1I_EEENS6_IJS14_S15_S16_S18_S17_EEENS6_IJS1A_S18_S17_S1B_NSG_IJLi7ELi8EEEEEEENSG_IJLi5ELi6ELi7ELi8EEEElEES1O_EEES1O_NS_31BlockToCTileMap_M00_N0_M01AdaptILi64ELi64ENSQ_INS6_IJSW_SY_SY_EEENS6_IJS14_S15_S16_EEENS6_IJS1A_S18_S17_EEENSG_IJLi3ELi4EEEElEEiEELb0ELi2EEEvPKT0_PKT1_T2_PT3_T4_T5_T6_T7_T8_T9_T10_T11_.uses_vcc, 0
	.set _ZN2ck51kernel_gemm_multiple_d_xdl_cshuffle_lds_direct_loadINS_48GridwiseGemmMultipleD_Xdl_CShuffle_LdsDirectLoadINS_13tensor_layout4gemm8RowMajorENS3_11ColumnMajorENS_5TupleIJS4_S4_EEES4_fffffNS6_IJffEEEfNS_16tensor_operation12element_wise11PassThroughESB_NSA_14AddAddFastGeluELNS_25InMemoryDataOperationEnumE0ELNS9_6device18GemmSpecializationE0ELi1ELi64ELi64ELi64ELi64ELi8ELi8ELi16ELi16ELi4ELi2ENS_8SequenceIJLi8ELi1ELi8EEEENSG_IJLi1ELi0ELi2EEEELi2ELi1ELi0ESH_SI_Li2ELi1ELi0ELi2ELi2ENSG_IJLi1ELi8ELi1ELi8EEEELi4ELNS_13LoopSchedulerE0ELNS_15PipelineVersionE2EfEEffNS6_IJPKfSO_EEEfSB_SB_SC_NS_16TensorDescriptorINS6_IJNS_5EmbedINS6_IJiiEEENS6_IJiNS_17integral_constantIiLi1EEEEEELb0EEENS_11PassThroughIiEESY_NS_7UnMergeINS6_IJiNST_IiLi8EEEEEELb0EEESY_EEENS6_IJNSG_IJLi0EEEENSG_IJLi1EEEENSG_IJLi2EEEENSG_IJLi4EEEENSG_IJLi3EEEEEEENS6_IJNSG_IJLi1ELi2EEEES18_S17_NSG_IJLi5ELi6EEEENSG_IJLi7EEEEEEENSG_IJLi5ELi7ELi6EEEElEES1F_NS6_IJNSQ_INS6_IJSW_SY_SY_NSZ_INS6_IJiNST_IiLi64EEEEEELb0EEES1I_EEENS6_IJS14_S15_S16_S18_S17_EEENS6_IJS1A_S18_S17_S1B_NSG_IJLi7ELi8EEEEEEENSG_IJLi5ELi6ELi7ELi8EEEElEES1O_EEES1O_NS_31BlockToCTileMap_M00_N0_M01AdaptILi64ELi64ENSQ_INS6_IJSW_SY_SY_EEENS6_IJS14_S15_S16_EEENS6_IJS1A_S18_S17_EEENSG_IJLi3ELi4EEEElEEiEELb0ELi2EEEvPKT0_PKT1_T2_PT3_T4_T5_T6_T7_T8_T9_T10_T11_.uses_flat_scratch, 0
	.set _ZN2ck51kernel_gemm_multiple_d_xdl_cshuffle_lds_direct_loadINS_48GridwiseGemmMultipleD_Xdl_CShuffle_LdsDirectLoadINS_13tensor_layout4gemm8RowMajorENS3_11ColumnMajorENS_5TupleIJS4_S4_EEES4_fffffNS6_IJffEEEfNS_16tensor_operation12element_wise11PassThroughESB_NSA_14AddAddFastGeluELNS_25InMemoryDataOperationEnumE0ELNS9_6device18GemmSpecializationE0ELi1ELi64ELi64ELi64ELi64ELi8ELi8ELi16ELi16ELi4ELi2ENS_8SequenceIJLi8ELi1ELi8EEEENSG_IJLi1ELi0ELi2EEEELi2ELi1ELi0ESH_SI_Li2ELi1ELi0ELi2ELi2ENSG_IJLi1ELi8ELi1ELi8EEEELi4ELNS_13LoopSchedulerE0ELNS_15PipelineVersionE2EfEEffNS6_IJPKfSO_EEEfSB_SB_SC_NS_16TensorDescriptorINS6_IJNS_5EmbedINS6_IJiiEEENS6_IJiNS_17integral_constantIiLi1EEEEEELb0EEENS_11PassThroughIiEESY_NS_7UnMergeINS6_IJiNST_IiLi8EEEEEELb0EEESY_EEENS6_IJNSG_IJLi0EEEENSG_IJLi1EEEENSG_IJLi2EEEENSG_IJLi4EEEENSG_IJLi3EEEEEEENS6_IJNSG_IJLi1ELi2EEEES18_S17_NSG_IJLi5ELi6EEEENSG_IJLi7EEEEEEENSG_IJLi5ELi7ELi6EEEElEES1F_NS6_IJNSQ_INS6_IJSW_SY_SY_NSZ_INS6_IJiNST_IiLi64EEEEEELb0EEES1I_EEENS6_IJS14_S15_S16_S18_S17_EEENS6_IJS1A_S18_S17_S1B_NSG_IJLi7ELi8EEEEEEENSG_IJLi5ELi6ELi7ELi8EEEElEES1O_EEES1O_NS_31BlockToCTileMap_M00_N0_M01AdaptILi64ELi64ENSQ_INS6_IJSW_SY_SY_EEENS6_IJS14_S15_S16_EEENS6_IJS1A_S18_S17_EEENSG_IJLi3ELi4EEEElEEiEELb0ELi2EEEvPKT0_PKT1_T2_PT3_T4_T5_T6_T7_T8_T9_T10_T11_.has_dyn_sized_stack, 0
	.set _ZN2ck51kernel_gemm_multiple_d_xdl_cshuffle_lds_direct_loadINS_48GridwiseGemmMultipleD_Xdl_CShuffle_LdsDirectLoadINS_13tensor_layout4gemm8RowMajorENS3_11ColumnMajorENS_5TupleIJS4_S4_EEES4_fffffNS6_IJffEEEfNS_16tensor_operation12element_wise11PassThroughESB_NSA_14AddAddFastGeluELNS_25InMemoryDataOperationEnumE0ELNS9_6device18GemmSpecializationE0ELi1ELi64ELi64ELi64ELi64ELi8ELi8ELi16ELi16ELi4ELi2ENS_8SequenceIJLi8ELi1ELi8EEEENSG_IJLi1ELi0ELi2EEEELi2ELi1ELi0ESH_SI_Li2ELi1ELi0ELi2ELi2ENSG_IJLi1ELi8ELi1ELi8EEEELi4ELNS_13LoopSchedulerE0ELNS_15PipelineVersionE2EfEEffNS6_IJPKfSO_EEEfSB_SB_SC_NS_16TensorDescriptorINS6_IJNS_5EmbedINS6_IJiiEEENS6_IJiNS_17integral_constantIiLi1EEEEEELb0EEENS_11PassThroughIiEESY_NS_7UnMergeINS6_IJiNST_IiLi8EEEEEELb0EEESY_EEENS6_IJNSG_IJLi0EEEENSG_IJLi1EEEENSG_IJLi2EEEENSG_IJLi4EEEENSG_IJLi3EEEEEEENS6_IJNSG_IJLi1ELi2EEEES18_S17_NSG_IJLi5ELi6EEEENSG_IJLi7EEEEEEENSG_IJLi5ELi7ELi6EEEElEES1F_NS6_IJNSQ_INS6_IJSW_SY_SY_NSZ_INS6_IJiNST_IiLi64EEEEEELb0EEES1I_EEENS6_IJS14_S15_S16_S18_S17_EEENS6_IJS1A_S18_S17_S1B_NSG_IJLi7ELi8EEEEEEENSG_IJLi5ELi6ELi7ELi8EEEElEES1O_EEES1O_NS_31BlockToCTileMap_M00_N0_M01AdaptILi64ELi64ENSQ_INS6_IJSW_SY_SY_EEENS6_IJS14_S15_S16_EEENS6_IJS1A_S18_S17_EEENSG_IJLi3ELi4EEEElEEiEELb0ELi2EEEvPKT0_PKT1_T2_PT3_T4_T5_T6_T7_T8_T9_T10_T11_.has_recursion, 0
	.set _ZN2ck51kernel_gemm_multiple_d_xdl_cshuffle_lds_direct_loadINS_48GridwiseGemmMultipleD_Xdl_CShuffle_LdsDirectLoadINS_13tensor_layout4gemm8RowMajorENS3_11ColumnMajorENS_5TupleIJS4_S4_EEES4_fffffNS6_IJffEEEfNS_16tensor_operation12element_wise11PassThroughESB_NSA_14AddAddFastGeluELNS_25InMemoryDataOperationEnumE0ELNS9_6device18GemmSpecializationE0ELi1ELi64ELi64ELi64ELi64ELi8ELi8ELi16ELi16ELi4ELi2ENS_8SequenceIJLi8ELi1ELi8EEEENSG_IJLi1ELi0ELi2EEEELi2ELi1ELi0ESH_SI_Li2ELi1ELi0ELi2ELi2ENSG_IJLi1ELi8ELi1ELi8EEEELi4ELNS_13LoopSchedulerE0ELNS_15PipelineVersionE2EfEEffNS6_IJPKfSO_EEEfSB_SB_SC_NS_16TensorDescriptorINS6_IJNS_5EmbedINS6_IJiiEEENS6_IJiNS_17integral_constantIiLi1EEEEEELb0EEENS_11PassThroughIiEESY_NS_7UnMergeINS6_IJiNST_IiLi8EEEEEELb0EEESY_EEENS6_IJNSG_IJLi0EEEENSG_IJLi1EEEENSG_IJLi2EEEENSG_IJLi4EEEENSG_IJLi3EEEEEEENS6_IJNSG_IJLi1ELi2EEEES18_S17_NSG_IJLi5ELi6EEEENSG_IJLi7EEEEEEENSG_IJLi5ELi7ELi6EEEElEES1F_NS6_IJNSQ_INS6_IJSW_SY_SY_NSZ_INS6_IJiNST_IiLi64EEEEEELb0EEES1I_EEENS6_IJS14_S15_S16_S18_S17_EEENS6_IJS1A_S18_S17_S1B_NSG_IJLi7ELi8EEEEEEENSG_IJLi5ELi6ELi7ELi8EEEElEES1O_EEES1O_NS_31BlockToCTileMap_M00_N0_M01AdaptILi64ELi64ENSQ_INS6_IJSW_SY_SY_EEENS6_IJS14_S15_S16_EEENS6_IJS1A_S18_S17_EEENSG_IJLi3ELi4EEEElEEiEELb0ELi2EEEvPKT0_PKT1_T2_PT3_T4_T5_T6_T7_T8_T9_T10_T11_.has_indirect_call, 0
	.section	.AMDGPU.csdata,"",@progbits
; Kernel info:
; codeLenInByte = 4
; TotalNumSgprs: 6
; NumVgprs: 0
; NumAgprs: 0
; TotalNumVgprs: 0
; ScratchSize: 0
; MemoryBound: 0
; FloatMode: 240
; IeeeMode: 1
; LDSByteSize: 0 bytes/workgroup (compile time only)
; SGPRBlocks: 0
; VGPRBlocks: 0
; NumSGPRsForWavesPerEU: 6
; NumVGPRsForWavesPerEU: 1
; AccumOffset: 4
; Occupancy: 8
; WaveLimiterHint : 0
; COMPUTE_PGM_RSRC2:SCRATCH_EN: 0
; COMPUTE_PGM_RSRC2:USER_SGPR: 2
; COMPUTE_PGM_RSRC2:TRAP_HANDLER: 0
; COMPUTE_PGM_RSRC2:TGID_X_EN: 1
; COMPUTE_PGM_RSRC2:TGID_Y_EN: 0
; COMPUTE_PGM_RSRC2:TGID_Z_EN: 0
; COMPUTE_PGM_RSRC2:TIDIG_COMP_CNT: 0
; COMPUTE_PGM_RSRC3_GFX90A:ACCUM_OFFSET: 0
; COMPUTE_PGM_RSRC3_GFX90A:TG_SPLIT: 0
	.section	.AMDGPU.gpr_maximums,"",@progbits
	.set amdgpu.max_num_vgpr, 0
	.set amdgpu.max_num_agpr, 0
	.set amdgpu.max_num_sgpr, 0
	.section	.AMDGPU.csdata,"",@progbits
	.type	__hip_cuid_858ff6793e2ef2b9,@object ; @__hip_cuid_858ff6793e2ef2b9
	.section	.bss,"aw",@nobits
	.globl	__hip_cuid_858ff6793e2ef2b9
__hip_cuid_858ff6793e2ef2b9:
	.byte	0                               ; 0x0
	.size	__hip_cuid_858ff6793e2ef2b9, 1

	.ident	"AMD clang version 22.0.0git (https://github.com/RadeonOpenCompute/llvm-project roc-7.2.4 26084 f58b06dce1f9c15707c5f808fd002e18c2accf7e)"
	.section	".note.GNU-stack","",@progbits
	.addrsig
	.addrsig_sym __hip_cuid_858ff6793e2ef2b9
	.amdgpu_metadata
---
amdhsa.kernels:
  - .agpr_count:     0
    .args:           []
    .group_segment_fixed_size: 0
    .kernarg_segment_align: 4
    .kernarg_segment_size: 0
    .language:       OpenCL C
    .language_version:
      - 2
      - 0
    .max_flat_workgroup_size: 1024
    .name:           _ZN2ckL12flush_icacheEv
    .private_segment_fixed_size: 0
    .sgpr_count:     6
    .sgpr_spill_count: 0
    .symbol:         _ZN2ckL12flush_icacheEv.kd
    .uniform_work_group_size: 1
    .uses_dynamic_stack: false
    .vgpr_count:     0
    .vgpr_spill_count: 0
    .wavefront_size: 64
  - .agpr_count:     0
    .args:
      - .address_space:  global
        .offset:         0
        .size:           8
        .value_kind:     global_buffer
      - .address_space:  global
        .offset:         8
        .size:           8
        .value_kind:     global_buffer
      - .offset:         16
        .size:           16
        .value_kind:     by_value
      - .actual_access:  write_only
        .address_space:  global
        .offset:         32
        .size:           8
        .value_kind:     global_buffer
      - .offset:         40
        .size:           1
        .value_kind:     by_value
      - .offset:         41
        .size:           1
        .value_kind:     by_value
      - .offset:         42
        .size:           1
        .value_kind:     by_value
      - .offset:         48
        .size:           56
        .value_kind:     by_value
      - .offset:         104
        .size:           56
        .value_kind:     by_value
      - .offset:         160
        .size:           128
        .value_kind:     by_value
      - .offset:         288
        .size:           64
        .value_kind:     by_value
      - .offset:         352
        .size:           12
        .value_kind:     by_value
    .group_segment_fixed_size: 32768
    .kernarg_segment_align: 8
    .kernarg_segment_size: 364
    .language:       OpenCL C
    .language_version:
      - 2
      - 0
    .max_flat_workgroup_size: 64
    .name:           _ZN2ck51kernel_gemm_multiple_d_xdl_cshuffle_lds_direct_loadINS_48GridwiseGemmMultipleD_Xdl_CShuffle_LdsDirectLoadINS_13tensor_layout4gemm8RowMajorENS3_11ColumnMajorENS_5TupleIJS4_S4_EEES4_fffffNS6_IJffEEEfNS_16tensor_operation12element_wise11PassThroughESB_NSA_14AddAddFastGeluELNS_25InMemoryDataOperationEnumE0ELNS9_6device18GemmSpecializationE0ELi1ELi64ELi64ELi64ELi64ELi8ELi8ELi32ELi32ELi2ELi2ENS_8SequenceIJLi8ELi1ELi8EEEENSG_IJLi1ELi0ELi2EEEELi2ELi1ELi0ESH_SI_Li2ELi1ELi0ELi1ELi1ENSG_IJLi1ELi8ELi1ELi8EEEELi4ELNS_13LoopSchedulerE0ELNS_15PipelineVersionE2EfEEffNS6_IJPKfSO_EEEfSB_SB_SC_NS_16TensorDescriptorINS6_IJNS_5EmbedINS6_IJiiEEENS6_IJiNS_17integral_constantIiLi1EEEEEELb0EEENS_11PassThroughIiEESY_NS_7UnMergeINS6_IJiNST_IiLi8EEEEEELb0EEESY_EEENS6_IJNSG_IJLi0EEEENSG_IJLi1EEEENSG_IJLi2EEEENSG_IJLi4EEEENSG_IJLi3EEEEEEENS6_IJNSG_IJLi1ELi2EEEES18_S17_NSG_IJLi5ELi6EEEENSG_IJLi7EEEEEEENSG_IJLi5ELi7ELi6EEEElEES1F_NS6_IJNSQ_INS6_IJSW_SY_SY_NSZ_INS6_IJiNST_IiLi64EEEEEELb0EEES1I_EEENS6_IJS14_S15_S16_S18_S17_EEENS6_IJS1A_S18_S17_S1B_NSG_IJLi7ELi8EEEEEEENSG_IJLi5ELi6ELi7ELi8EEEElEES1O_EEES1O_NS_31BlockToCTileMap_M00_N0_M01AdaptILi64ELi64ENSQ_INS6_IJSW_SY_SY_EEENS6_IJS14_S15_S16_EEENS6_IJS1A_S18_S17_EEENSG_IJLi3ELi4EEEElEEiEELb1ELi2EEEvPKT0_PKT1_T2_PT3_T4_T5_T6_T7_T8_T9_T10_T11_
    .private_segment_fixed_size: 0
    .sgpr_count:     106
    .sgpr_spill_count: 61
    .symbol:         _ZN2ck51kernel_gemm_multiple_d_xdl_cshuffle_lds_direct_loadINS_48GridwiseGemmMultipleD_Xdl_CShuffle_LdsDirectLoadINS_13tensor_layout4gemm8RowMajorENS3_11ColumnMajorENS_5TupleIJS4_S4_EEES4_fffffNS6_IJffEEEfNS_16tensor_operation12element_wise11PassThroughESB_NSA_14AddAddFastGeluELNS_25InMemoryDataOperationEnumE0ELNS9_6device18GemmSpecializationE0ELi1ELi64ELi64ELi64ELi64ELi8ELi8ELi32ELi32ELi2ELi2ENS_8SequenceIJLi8ELi1ELi8EEEENSG_IJLi1ELi0ELi2EEEELi2ELi1ELi0ESH_SI_Li2ELi1ELi0ELi1ELi1ENSG_IJLi1ELi8ELi1ELi8EEEELi4ELNS_13LoopSchedulerE0ELNS_15PipelineVersionE2EfEEffNS6_IJPKfSO_EEEfSB_SB_SC_NS_16TensorDescriptorINS6_IJNS_5EmbedINS6_IJiiEEENS6_IJiNS_17integral_constantIiLi1EEEEEELb0EEENS_11PassThroughIiEESY_NS_7UnMergeINS6_IJiNST_IiLi8EEEEEELb0EEESY_EEENS6_IJNSG_IJLi0EEEENSG_IJLi1EEEENSG_IJLi2EEEENSG_IJLi4EEEENSG_IJLi3EEEEEEENS6_IJNSG_IJLi1ELi2EEEES18_S17_NSG_IJLi5ELi6EEEENSG_IJLi7EEEEEEENSG_IJLi5ELi7ELi6EEEElEES1F_NS6_IJNSQ_INS6_IJSW_SY_SY_NSZ_INS6_IJiNST_IiLi64EEEEEELb0EEES1I_EEENS6_IJS14_S15_S16_S18_S17_EEENS6_IJS1A_S18_S17_S1B_NSG_IJLi7ELi8EEEEEEENSG_IJLi5ELi6ELi7ELi8EEEElEES1O_EEES1O_NS_31BlockToCTileMap_M00_N0_M01AdaptILi64ELi64ENSQ_INS6_IJSW_SY_SY_EEENS6_IJS14_S15_S16_EEENS6_IJS1A_S18_S17_EEENSG_IJLi3ELi4EEEElEEiEELb1ELi2EEEvPKT0_PKT1_T2_PT3_T4_T5_T6_T7_T8_T9_T10_T11_.kd
    .uniform_work_group_size: 1
    .uses_dynamic_stack: false
    .vgpr_count:     249
    .vgpr_spill_count: 0
    .wavefront_size: 64
  - .agpr_count:     0
    .args:
      - .address_space:  global
        .offset:         0
        .size:           8
        .value_kind:     global_buffer
      - .address_space:  global
        .offset:         8
        .size:           8
        .value_kind:     global_buffer
      - .offset:         16
        .size:           16
        .value_kind:     by_value
      - .actual_access:  write_only
        .address_space:  global
        .offset:         32
        .size:           8
        .value_kind:     global_buffer
      - .offset:         40
        .size:           1
        .value_kind:     by_value
      - .offset:         41
        .size:           1
        .value_kind:     by_value
      - .offset:         42
        .size:           1
        .value_kind:     by_value
      - .offset:         48
        .size:           56
        .value_kind:     by_value
      - .offset:         104
        .size:           56
        .value_kind:     by_value
      - .offset:         160
        .size:           128
        .value_kind:     by_value
      - .offset:         288
        .size:           64
        .value_kind:     by_value
      - .offset:         352
        .size:           12
        .value_kind:     by_value
    .group_segment_fixed_size: 32768
    .kernarg_segment_align: 8
    .kernarg_segment_size: 364
    .language:       OpenCL C
    .language_version:
      - 2
      - 0
    .max_flat_workgroup_size: 64
    .name:           _ZN2ck51kernel_gemm_multiple_d_xdl_cshuffle_lds_direct_loadINS_48GridwiseGemmMultipleD_Xdl_CShuffle_LdsDirectLoadINS_13tensor_layout4gemm8RowMajorENS3_11ColumnMajorENS_5TupleIJS4_S4_EEES4_fffffNS6_IJffEEEfNS_16tensor_operation12element_wise11PassThroughESB_NSA_14AddAddFastGeluELNS_25InMemoryDataOperationEnumE0ELNS9_6device18GemmSpecializationE0ELi1ELi64ELi64ELi64ELi64ELi8ELi8ELi32ELi32ELi2ELi2ENS_8SequenceIJLi8ELi1ELi8EEEENSG_IJLi1ELi0ELi2EEEELi2ELi1ELi0ESH_SI_Li2ELi1ELi0ELi1ELi1ENSG_IJLi1ELi8ELi1ELi8EEEELi4ELNS_13LoopSchedulerE0ELNS_15PipelineVersionE2EfEEffNS6_IJPKfSO_EEEfSB_SB_SC_NS_16TensorDescriptorINS6_IJNS_5EmbedINS6_IJiiEEENS6_IJiNS_17integral_constantIiLi1EEEEEELb0EEENS_11PassThroughIiEESY_NS_7UnMergeINS6_IJiNST_IiLi8EEEEEELb0EEESY_EEENS6_IJNSG_IJLi0EEEENSG_IJLi1EEEENSG_IJLi2EEEENSG_IJLi4EEEENSG_IJLi3EEEEEEENS6_IJNSG_IJLi1ELi2EEEES18_S17_NSG_IJLi5ELi6EEEENSG_IJLi7EEEEEEENSG_IJLi5ELi7ELi6EEEElEES1F_NS6_IJNSQ_INS6_IJSW_SY_SY_NSZ_INS6_IJiNST_IiLi64EEEEEELb0EEES1I_EEENS6_IJS14_S15_S16_S18_S17_EEENS6_IJS1A_S18_S17_S1B_NSG_IJLi7ELi8EEEEEEENSG_IJLi5ELi6ELi7ELi8EEEElEES1O_EEES1O_NS_31BlockToCTileMap_M00_N0_M01AdaptILi64ELi64ENSQ_INS6_IJSW_SY_SY_EEENS6_IJS14_S15_S16_EEENS6_IJS1A_S18_S17_EEENSG_IJLi3ELi4EEEElEEiEELb0ELi2EEEvPKT0_PKT1_T2_PT3_T4_T5_T6_T7_T8_T9_T10_T11_
    .private_segment_fixed_size: 0
    .sgpr_count:     33
    .sgpr_spill_count: 0
    .symbol:         _ZN2ck51kernel_gemm_multiple_d_xdl_cshuffle_lds_direct_loadINS_48GridwiseGemmMultipleD_Xdl_CShuffle_LdsDirectLoadINS_13tensor_layout4gemm8RowMajorENS3_11ColumnMajorENS_5TupleIJS4_S4_EEES4_fffffNS6_IJffEEEfNS_16tensor_operation12element_wise11PassThroughESB_NSA_14AddAddFastGeluELNS_25InMemoryDataOperationEnumE0ELNS9_6device18GemmSpecializationE0ELi1ELi64ELi64ELi64ELi64ELi8ELi8ELi32ELi32ELi2ELi2ENS_8SequenceIJLi8ELi1ELi8EEEENSG_IJLi1ELi0ELi2EEEELi2ELi1ELi0ESH_SI_Li2ELi1ELi0ELi1ELi1ENSG_IJLi1ELi8ELi1ELi8EEEELi4ELNS_13LoopSchedulerE0ELNS_15PipelineVersionE2EfEEffNS6_IJPKfSO_EEEfSB_SB_SC_NS_16TensorDescriptorINS6_IJNS_5EmbedINS6_IJiiEEENS6_IJiNS_17integral_constantIiLi1EEEEEELb0EEENS_11PassThroughIiEESY_NS_7UnMergeINS6_IJiNST_IiLi8EEEEEELb0EEESY_EEENS6_IJNSG_IJLi0EEEENSG_IJLi1EEEENSG_IJLi2EEEENSG_IJLi4EEEENSG_IJLi3EEEEEEENS6_IJNSG_IJLi1ELi2EEEES18_S17_NSG_IJLi5ELi6EEEENSG_IJLi7EEEEEEENSG_IJLi5ELi7ELi6EEEElEES1F_NS6_IJNSQ_INS6_IJSW_SY_SY_NSZ_INS6_IJiNST_IiLi64EEEEEELb0EEES1I_EEENS6_IJS14_S15_S16_S18_S17_EEENS6_IJS1A_S18_S17_S1B_NSG_IJLi7ELi8EEEEEEENSG_IJLi5ELi6ELi7ELi8EEEElEES1O_EEES1O_NS_31BlockToCTileMap_M00_N0_M01AdaptILi64ELi64ENSQ_INS6_IJSW_SY_SY_EEENS6_IJS14_S15_S16_EEENS6_IJS1A_S18_S17_EEENSG_IJLi3ELi4EEEElEEiEELb0ELi2EEEvPKT0_PKT1_T2_PT3_T4_T5_T6_T7_T8_T9_T10_T11_.kd
    .uniform_work_group_size: 1
    .uses_dynamic_stack: false
    .vgpr_count:     163
    .vgpr_spill_count: 0
    .wavefront_size: 64
  - .agpr_count:     0
    .args:
      - .actual_access:  read_only
        .address_space:  global
        .offset:         0
        .size:           8
        .value_kind:     global_buffer
      - .actual_access:  read_only
        .address_space:  global
        .offset:         8
        .size:           8
        .value_kind:     global_buffer
      - .offset:         16
        .size:           16
        .value_kind:     by_value
      - .actual_access:  read_only
        .address_space:  global
        .offset:         32
        .size:           8
        .value_kind:     global_buffer
      - .offset:         40
        .size:           1
        .value_kind:     by_value
      - .offset:         41
        .size:           1
        .value_kind:     by_value
      - .offset:         42
        .size:           1
        .value_kind:     by_value
      - .offset:         48
        .size:           56
        .value_kind:     by_value
      - .offset:         104
        .size:           56
        .value_kind:     by_value
      - .offset:         160
        .size:           128
        .value_kind:     by_value
      - .offset:         288
        .size:           64
        .value_kind:     by_value
      - .offset:         352
        .size:           12
        .value_kind:     by_value
    .group_segment_fixed_size: 0
    .kernarg_segment_align: 8
    .kernarg_segment_size: 364
    .language:       OpenCL C
    .language_version:
      - 2
      - 0
    .max_flat_workgroup_size: 64
    .name:           _ZN2ck51kernel_gemm_multiple_d_xdl_cshuffle_lds_direct_loadINS_48GridwiseGemmMultipleD_Xdl_CShuffle_LdsDirectLoadINS_13tensor_layout4gemm8RowMajorENS3_11ColumnMajorENS_5TupleIJS4_S4_EEES4_fffffNS6_IJffEEEfNS_16tensor_operation12element_wise11PassThroughESB_NSA_14AddAddFastGeluELNS_25InMemoryDataOperationEnumE0ELNS9_6device18GemmSpecializationE0ELi1ELi64ELi64ELi64ELi64ELi8ELi8ELi16ELi16ELi4ELi2ENS_8SequenceIJLi8ELi1ELi8EEEENSG_IJLi1ELi0ELi2EEEELi2ELi1ELi0ESH_SI_Li2ELi1ELi0ELi2ELi2ENSG_IJLi1ELi8ELi1ELi8EEEELi4ELNS_13LoopSchedulerE0ELNS_15PipelineVersionE2EfEEffNS6_IJPKfSO_EEEfSB_SB_SC_NS_16TensorDescriptorINS6_IJNS_5EmbedINS6_IJiiEEENS6_IJiNS_17integral_constantIiLi1EEEEEELb0EEENS_11PassThroughIiEESY_NS_7UnMergeINS6_IJiNST_IiLi8EEEEEELb0EEESY_EEENS6_IJNSG_IJLi0EEEENSG_IJLi1EEEENSG_IJLi2EEEENSG_IJLi4EEEENSG_IJLi3EEEEEEENS6_IJNSG_IJLi1ELi2EEEES18_S17_NSG_IJLi5ELi6EEEENSG_IJLi7EEEEEEENSG_IJLi5ELi7ELi6EEEElEES1F_NS6_IJNSQ_INS6_IJSW_SY_SY_NSZ_INS6_IJiNST_IiLi64EEEEEELb0EEES1I_EEENS6_IJS14_S15_S16_S18_S17_EEENS6_IJS1A_S18_S17_S1B_NSG_IJLi7ELi8EEEEEEENSG_IJLi5ELi6ELi7ELi8EEEElEES1O_EEES1O_NS_31BlockToCTileMap_M00_N0_M01AdaptILi64ELi64ENSQ_INS6_IJSW_SY_SY_EEENS6_IJS14_S15_S16_EEENS6_IJS1A_S18_S17_EEENSG_IJLi3ELi4EEEElEEiEELb1ELi2EEEvPKT0_PKT1_T2_PT3_T4_T5_T6_T7_T8_T9_T10_T11_
    .private_segment_fixed_size: 0
    .sgpr_count:     6
    .sgpr_spill_count: 0
    .symbol:         _ZN2ck51kernel_gemm_multiple_d_xdl_cshuffle_lds_direct_loadINS_48GridwiseGemmMultipleD_Xdl_CShuffle_LdsDirectLoadINS_13tensor_layout4gemm8RowMajorENS3_11ColumnMajorENS_5TupleIJS4_S4_EEES4_fffffNS6_IJffEEEfNS_16tensor_operation12element_wise11PassThroughESB_NSA_14AddAddFastGeluELNS_25InMemoryDataOperationEnumE0ELNS9_6device18GemmSpecializationE0ELi1ELi64ELi64ELi64ELi64ELi8ELi8ELi16ELi16ELi4ELi2ENS_8SequenceIJLi8ELi1ELi8EEEENSG_IJLi1ELi0ELi2EEEELi2ELi1ELi0ESH_SI_Li2ELi1ELi0ELi2ELi2ENSG_IJLi1ELi8ELi1ELi8EEEELi4ELNS_13LoopSchedulerE0ELNS_15PipelineVersionE2EfEEffNS6_IJPKfSO_EEEfSB_SB_SC_NS_16TensorDescriptorINS6_IJNS_5EmbedINS6_IJiiEEENS6_IJiNS_17integral_constantIiLi1EEEEEELb0EEENS_11PassThroughIiEESY_NS_7UnMergeINS6_IJiNST_IiLi8EEEEEELb0EEESY_EEENS6_IJNSG_IJLi0EEEENSG_IJLi1EEEENSG_IJLi2EEEENSG_IJLi4EEEENSG_IJLi3EEEEEEENS6_IJNSG_IJLi1ELi2EEEES18_S17_NSG_IJLi5ELi6EEEENSG_IJLi7EEEEEEENSG_IJLi5ELi7ELi6EEEElEES1F_NS6_IJNSQ_INS6_IJSW_SY_SY_NSZ_INS6_IJiNST_IiLi64EEEEEELb0EEES1I_EEENS6_IJS14_S15_S16_S18_S17_EEENS6_IJS1A_S18_S17_S1B_NSG_IJLi7ELi8EEEEEEENSG_IJLi5ELi6ELi7ELi8EEEElEES1O_EEES1O_NS_31BlockToCTileMap_M00_N0_M01AdaptILi64ELi64ENSQ_INS6_IJSW_SY_SY_EEENS6_IJS14_S15_S16_EEENS6_IJS1A_S18_S17_EEENSG_IJLi3ELi4EEEElEEiEELb1ELi2EEEvPKT0_PKT1_T2_PT3_T4_T5_T6_T7_T8_T9_T10_T11_.kd
    .uniform_work_group_size: 1
    .uses_dynamic_stack: false
    .vgpr_count:     0
    .vgpr_spill_count: 0
    .wavefront_size: 64
  - .agpr_count:     0
    .args:
      - .actual_access:  read_only
        .address_space:  global
        .offset:         0
        .size:           8
        .value_kind:     global_buffer
      - .actual_access:  read_only
        .address_space:  global
        .offset:         8
        .size:           8
        .value_kind:     global_buffer
      - .offset:         16
        .size:           16
        .value_kind:     by_value
      - .actual_access:  read_only
        .address_space:  global
        .offset:         32
        .size:           8
        .value_kind:     global_buffer
      - .offset:         40
        .size:           1
        .value_kind:     by_value
      - .offset:         41
        .size:           1
        .value_kind:     by_value
      - .offset:         42
        .size:           1
        .value_kind:     by_value
      - .offset:         48
        .size:           56
        .value_kind:     by_value
      - .offset:         104
        .size:           56
        .value_kind:     by_value
      - .offset:         160
        .size:           128
        .value_kind:     by_value
      - .offset:         288
        .size:           64
        .value_kind:     by_value
      - .offset:         352
        .size:           12
        .value_kind:     by_value
    .group_segment_fixed_size: 0
    .kernarg_segment_align: 8
    .kernarg_segment_size: 364
    .language:       OpenCL C
    .language_version:
      - 2
      - 0
    .max_flat_workgroup_size: 64
    .name:           _ZN2ck51kernel_gemm_multiple_d_xdl_cshuffle_lds_direct_loadINS_48GridwiseGemmMultipleD_Xdl_CShuffle_LdsDirectLoadINS_13tensor_layout4gemm8RowMajorENS3_11ColumnMajorENS_5TupleIJS4_S4_EEES4_fffffNS6_IJffEEEfNS_16tensor_operation12element_wise11PassThroughESB_NSA_14AddAddFastGeluELNS_25InMemoryDataOperationEnumE0ELNS9_6device18GemmSpecializationE0ELi1ELi64ELi64ELi64ELi64ELi8ELi8ELi16ELi16ELi4ELi2ENS_8SequenceIJLi8ELi1ELi8EEEENSG_IJLi1ELi0ELi2EEEELi2ELi1ELi0ESH_SI_Li2ELi1ELi0ELi2ELi2ENSG_IJLi1ELi8ELi1ELi8EEEELi4ELNS_13LoopSchedulerE0ELNS_15PipelineVersionE2EfEEffNS6_IJPKfSO_EEEfSB_SB_SC_NS_16TensorDescriptorINS6_IJNS_5EmbedINS6_IJiiEEENS6_IJiNS_17integral_constantIiLi1EEEEEELb0EEENS_11PassThroughIiEESY_NS_7UnMergeINS6_IJiNST_IiLi8EEEEEELb0EEESY_EEENS6_IJNSG_IJLi0EEEENSG_IJLi1EEEENSG_IJLi2EEEENSG_IJLi4EEEENSG_IJLi3EEEEEEENS6_IJNSG_IJLi1ELi2EEEES18_S17_NSG_IJLi5ELi6EEEENSG_IJLi7EEEEEEENSG_IJLi5ELi7ELi6EEEElEES1F_NS6_IJNSQ_INS6_IJSW_SY_SY_NSZ_INS6_IJiNST_IiLi64EEEEEELb0EEES1I_EEENS6_IJS14_S15_S16_S18_S17_EEENS6_IJS1A_S18_S17_S1B_NSG_IJLi7ELi8EEEEEEENSG_IJLi5ELi6ELi7ELi8EEEElEES1O_EEES1O_NS_31BlockToCTileMap_M00_N0_M01AdaptILi64ELi64ENSQ_INS6_IJSW_SY_SY_EEENS6_IJS14_S15_S16_EEENS6_IJS1A_S18_S17_EEENSG_IJLi3ELi4EEEElEEiEELb0ELi2EEEvPKT0_PKT1_T2_PT3_T4_T5_T6_T7_T8_T9_T10_T11_
    .private_segment_fixed_size: 0
    .sgpr_count:     6
    .sgpr_spill_count: 0
    .symbol:         _ZN2ck51kernel_gemm_multiple_d_xdl_cshuffle_lds_direct_loadINS_48GridwiseGemmMultipleD_Xdl_CShuffle_LdsDirectLoadINS_13tensor_layout4gemm8RowMajorENS3_11ColumnMajorENS_5TupleIJS4_S4_EEES4_fffffNS6_IJffEEEfNS_16tensor_operation12element_wise11PassThroughESB_NSA_14AddAddFastGeluELNS_25InMemoryDataOperationEnumE0ELNS9_6device18GemmSpecializationE0ELi1ELi64ELi64ELi64ELi64ELi8ELi8ELi16ELi16ELi4ELi2ENS_8SequenceIJLi8ELi1ELi8EEEENSG_IJLi1ELi0ELi2EEEELi2ELi1ELi0ESH_SI_Li2ELi1ELi0ELi2ELi2ENSG_IJLi1ELi8ELi1ELi8EEEELi4ELNS_13LoopSchedulerE0ELNS_15PipelineVersionE2EfEEffNS6_IJPKfSO_EEEfSB_SB_SC_NS_16TensorDescriptorINS6_IJNS_5EmbedINS6_IJiiEEENS6_IJiNS_17integral_constantIiLi1EEEEEELb0EEENS_11PassThroughIiEESY_NS_7UnMergeINS6_IJiNST_IiLi8EEEEEELb0EEESY_EEENS6_IJNSG_IJLi0EEEENSG_IJLi1EEEENSG_IJLi2EEEENSG_IJLi4EEEENSG_IJLi3EEEEEEENS6_IJNSG_IJLi1ELi2EEEES18_S17_NSG_IJLi5ELi6EEEENSG_IJLi7EEEEEEENSG_IJLi5ELi7ELi6EEEElEES1F_NS6_IJNSQ_INS6_IJSW_SY_SY_NSZ_INS6_IJiNST_IiLi64EEEEEELb0EEES1I_EEENS6_IJS14_S15_S16_S18_S17_EEENS6_IJS1A_S18_S17_S1B_NSG_IJLi7ELi8EEEEEEENSG_IJLi5ELi6ELi7ELi8EEEElEES1O_EEES1O_NS_31BlockToCTileMap_M00_N0_M01AdaptILi64ELi64ENSQ_INS6_IJSW_SY_SY_EEENS6_IJS14_S15_S16_EEENS6_IJS1A_S18_S17_EEENSG_IJLi3ELi4EEEElEEiEELb0ELi2EEEvPKT0_PKT1_T2_PT3_T4_T5_T6_T7_T8_T9_T10_T11_.kd
    .uniform_work_group_size: 1
    .uses_dynamic_stack: false
    .vgpr_count:     0
    .vgpr_spill_count: 0
    .wavefront_size: 64
amdhsa.target:   amdgcn-amd-amdhsa--gfx950
amdhsa.version:
  - 1
  - 2
...

	.end_amdgpu_metadata
